;; amdgpu-corpus repo=ROCm/rocFFT kind=compiled arch=gfx950 opt=O3
	.text
	.amdgcn_target "amdgcn-amd-amdhsa--gfx950"
	.amdhsa_code_object_version 6
	.protected	fft_rtc_back_len1650_factors_11_2_3_5_5_wgs_110_tpt_110_halfLds_dp_op_CI_CI_unitstride_sbrr_R2C_dirReg ; -- Begin function fft_rtc_back_len1650_factors_11_2_3_5_5_wgs_110_tpt_110_halfLds_dp_op_CI_CI_unitstride_sbrr_R2C_dirReg
	.globl	fft_rtc_back_len1650_factors_11_2_3_5_5_wgs_110_tpt_110_halfLds_dp_op_CI_CI_unitstride_sbrr_R2C_dirReg
	.p2align	8
	.type	fft_rtc_back_len1650_factors_11_2_3_5_5_wgs_110_tpt_110_halfLds_dp_op_CI_CI_unitstride_sbrr_R2C_dirReg,@function
fft_rtc_back_len1650_factors_11_2_3_5_5_wgs_110_tpt_110_halfLds_dp_op_CI_CI_unitstride_sbrr_R2C_dirReg: ; @fft_rtc_back_len1650_factors_11_2_3_5_5_wgs_110_tpt_110_halfLds_dp_op_CI_CI_unitstride_sbrr_R2C_dirReg
; %bb.0:
	s_load_dwordx4 s[4:7], s[0:1], 0x58
	s_load_dwordx4 s[8:11], s[0:1], 0x0
	;; [unrolled: 1-line block ×3, first 2 shown]
	v_mul_u32_u24_e32 v1, 0x254, v0
	v_add_u32_sdwa v6, s2, v1 dst_sel:DWORD dst_unused:UNUSED_PAD src0_sel:DWORD src1_sel:WORD_1
	v_mov_b32_e32 v4, 0
	s_waitcnt lgkmcnt(0)
	v_cmp_lt_u64_e64 s[2:3], s[10:11], 2
	v_mov_b32_e32 v7, v4
	s_and_b64 vcc, exec, s[2:3]
	v_mov_b64_e32 v[2:3], 0
	s_cbranch_vccnz .LBB0_8
; %bb.1:
	s_load_dwordx2 s[2:3], s[0:1], 0x10
	s_add_u32 s16, s14, 8
	s_addc_u32 s17, s15, 0
	s_add_u32 s18, s12, 8
	s_addc_u32 s19, s13, 0
	s_waitcnt lgkmcnt(0)
	s_add_u32 s20, s2, 8
	v_mov_b64_e32 v[2:3], 0
	s_addc_u32 s21, s3, 0
	s_mov_b64 s[22:23], 1
	v_mov_b64_e32 v[76:77], v[2:3]
.LBB0_2:                                ; =>This Inner Loop Header: Depth=1
	s_load_dwordx2 s[24:25], s[20:21], 0x0
                                        ; implicit-def: $vgpr80_vgpr81
	s_waitcnt lgkmcnt(0)
	v_or_b32_e32 v5, s25, v7
	v_cmp_ne_u64_e32 vcc, 0, v[4:5]
	s_and_saveexec_b64 s[2:3], vcc
	s_xor_b64 s[26:27], exec, s[2:3]
	s_cbranch_execz .LBB0_4
; %bb.3:                                ;   in Loop: Header=BB0_2 Depth=1
	v_cvt_f32_u32_e32 v1, s24
	v_cvt_f32_u32_e32 v5, s25
	s_sub_u32 s2, 0, s24
	s_subb_u32 s3, 0, s25
	v_fmac_f32_e32 v1, 0x4f800000, v5
	v_rcp_f32_e32 v1, v1
	s_nop 0
	v_mul_f32_e32 v1, 0x5f7ffffc, v1
	v_mul_f32_e32 v5, 0x2f800000, v1
	v_trunc_f32_e32 v5, v5
	v_fmac_f32_e32 v1, 0xcf800000, v5
	v_cvt_u32_f32_e32 v5, v5
	v_cvt_u32_f32_e32 v1, v1
	v_mul_lo_u32 v8, s2, v5
	v_mul_hi_u32 v10, s2, v1
	v_mul_lo_u32 v9, s3, v1
	v_add_u32_e32 v10, v10, v8
	v_mul_lo_u32 v12, s2, v1
	v_add_u32_e32 v13, v10, v9
	v_mul_hi_u32 v8, v1, v12
	v_mul_hi_u32 v11, v1, v13
	v_mul_lo_u32 v10, v1, v13
	v_mov_b32_e32 v9, v4
	v_lshl_add_u64 v[8:9], v[8:9], 0, v[10:11]
	v_mul_hi_u32 v11, v5, v12
	v_mul_lo_u32 v12, v5, v12
	v_add_co_u32_e32 v8, vcc, v8, v12
	v_mul_hi_u32 v10, v5, v13
	s_nop 0
	v_addc_co_u32_e32 v8, vcc, v9, v11, vcc
	v_mov_b32_e32 v9, v4
	s_nop 0
	v_addc_co_u32_e32 v11, vcc, 0, v10, vcc
	v_mul_lo_u32 v10, v5, v13
	v_lshl_add_u64 v[8:9], v[8:9], 0, v[10:11]
	v_add_co_u32_e32 v1, vcc, v1, v8
	v_mul_lo_u32 v10, s2, v1
	s_nop 0
	v_addc_co_u32_e32 v5, vcc, v5, v9, vcc
	v_mul_lo_u32 v8, s2, v5
	v_mul_hi_u32 v9, s2, v1
	v_add_u32_e32 v8, v9, v8
	v_mul_lo_u32 v9, s3, v1
	v_add_u32_e32 v12, v8, v9
	v_mul_hi_u32 v14, v5, v10
	v_mul_lo_u32 v15, v5, v10
	v_mul_hi_u32 v9, v1, v12
	v_mul_lo_u32 v8, v1, v12
	v_mul_hi_u32 v10, v1, v10
	v_mov_b32_e32 v11, v4
	v_lshl_add_u64 v[8:9], v[10:11], 0, v[8:9]
	v_add_co_u32_e32 v8, vcc, v8, v15
	v_mul_hi_u32 v13, v5, v12
	s_nop 0
	v_addc_co_u32_e32 v8, vcc, v9, v14, vcc
	v_mul_lo_u32 v10, v5, v12
	s_nop 0
	v_addc_co_u32_e32 v11, vcc, 0, v13, vcc
	v_mov_b32_e32 v9, v4
	v_lshl_add_u64 v[8:9], v[8:9], 0, v[10:11]
	v_add_co_u32_e32 v1, vcc, v1, v8
	v_mul_hi_u32 v10, v6, v1
	s_nop 0
	v_addc_co_u32_e32 v5, vcc, v5, v9, vcc
	v_mad_u64_u32 v[8:9], s[2:3], v6, v5, 0
	v_mov_b32_e32 v11, v4
	v_lshl_add_u64 v[8:9], v[10:11], 0, v[8:9]
	v_mad_u64_u32 v[12:13], s[2:3], v7, v1, 0
	v_add_co_u32_e32 v1, vcc, v8, v12
	v_mad_u64_u32 v[10:11], s[2:3], v7, v5, 0
	s_nop 0
	v_addc_co_u32_e32 v8, vcc, v9, v13, vcc
	v_mov_b32_e32 v9, v4
	s_nop 0
	v_addc_co_u32_e32 v11, vcc, 0, v11, vcc
	v_lshl_add_u64 v[8:9], v[8:9], 0, v[10:11]
	v_mul_lo_u32 v1, s25, v8
	v_mul_lo_u32 v5, s24, v9
	v_mad_u64_u32 v[10:11], s[2:3], s24, v8, 0
	v_add3_u32 v1, v11, v5, v1
	v_sub_u32_e32 v5, v7, v1
	v_mov_b32_e32 v11, s25
	v_sub_co_u32_e32 v14, vcc, v6, v10
	v_lshl_add_u64 v[12:13], v[8:9], 0, 1
	s_nop 0
	v_subb_co_u32_e64 v5, s[2:3], v5, v11, vcc
	v_subrev_co_u32_e64 v10, s[2:3], s24, v14
	v_subb_co_u32_e32 v1, vcc, v7, v1, vcc
	s_nop 0
	v_subbrev_co_u32_e64 v5, s[2:3], 0, v5, s[2:3]
	v_cmp_le_u32_e64 s[2:3], s25, v5
	v_cmp_le_u32_e32 vcc, s25, v1
	s_nop 0
	v_cndmask_b32_e64 v11, 0, -1, s[2:3]
	v_cmp_le_u32_e64 s[2:3], s24, v10
	s_nop 1
	v_cndmask_b32_e64 v10, 0, -1, s[2:3]
	v_cmp_eq_u32_e64 s[2:3], s25, v5
	s_nop 1
	v_cndmask_b32_e64 v5, v11, v10, s[2:3]
	v_lshl_add_u64 v[10:11], v[8:9], 0, 2
	v_cmp_ne_u32_e64 s[2:3], 0, v5
	s_nop 1
	v_cndmask_b32_e64 v5, v13, v11, s[2:3]
	v_cndmask_b32_e64 v11, 0, -1, vcc
	v_cmp_le_u32_e32 vcc, s24, v14
	s_nop 1
	v_cndmask_b32_e64 v13, 0, -1, vcc
	v_cmp_eq_u32_e32 vcc, s25, v1
	s_nop 1
	v_cndmask_b32_e32 v1, v11, v13, vcc
	v_cmp_ne_u32_e32 vcc, 0, v1
	v_cndmask_b32_e64 v1, v12, v10, s[2:3]
	s_nop 0
	v_cndmask_b32_e32 v81, v9, v5, vcc
	v_cndmask_b32_e32 v80, v8, v1, vcc
.LBB0_4:                                ;   in Loop: Header=BB0_2 Depth=1
	s_andn2_saveexec_b64 s[2:3], s[26:27]
	s_cbranch_execz .LBB0_6
; %bb.5:                                ;   in Loop: Header=BB0_2 Depth=1
	v_cvt_f32_u32_e32 v1, s24
	s_sub_i32 s26, 0, s24
	v_mov_b32_e32 v81, v4
	v_rcp_iflag_f32_e32 v1, v1
	s_nop 0
	v_mul_f32_e32 v1, 0x4f7ffffe, v1
	v_cvt_u32_f32_e32 v1, v1
	v_mul_lo_u32 v5, s26, v1
	v_mul_hi_u32 v5, v1, v5
	v_add_u32_e32 v1, v1, v5
	v_mul_hi_u32 v1, v6, v1
	v_mul_lo_u32 v5, v1, s24
	v_sub_u32_e32 v5, v6, v5
	v_add_u32_e32 v8, 1, v1
	v_subrev_u32_e32 v9, s24, v5
	v_cmp_le_u32_e32 vcc, s24, v5
	s_nop 1
	v_cndmask_b32_e32 v5, v5, v9, vcc
	v_cndmask_b32_e32 v1, v1, v8, vcc
	v_add_u32_e32 v8, 1, v1
	v_cmp_le_u32_e32 vcc, s24, v5
	s_nop 1
	v_cndmask_b32_e32 v80, v1, v8, vcc
.LBB0_6:                                ;   in Loop: Header=BB0_2 Depth=1
	s_or_b64 exec, exec, s[2:3]
	v_mad_u64_u32 v[8:9], s[2:3], v80, s24, 0
	s_load_dwordx2 s[2:3], s[18:19], 0x0
	v_mul_lo_u32 v1, v81, s24
	v_mul_lo_u32 v5, v80, s25
	s_load_dwordx2 s[24:25], s[16:17], 0x0
	s_add_u32 s22, s22, 1
	v_add3_u32 v1, v9, v5, v1
	v_sub_co_u32_e32 v5, vcc, v6, v8
	s_addc_u32 s23, s23, 0
	s_nop 0
	v_subb_co_u32_e32 v1, vcc, v7, v1, vcc
	s_add_u32 s16, s16, 8
	s_waitcnt lgkmcnt(0)
	v_mul_lo_u32 v6, s2, v1
	v_mul_lo_u32 v7, s3, v5
	v_mad_u64_u32 v[2:3], s[2:3], s2, v5, v[2:3]
	s_addc_u32 s17, s17, 0
	v_add3_u32 v3, v7, v3, v6
	v_mul_lo_u32 v1, s24, v1
	v_mul_lo_u32 v6, s25, v5
	v_mad_u64_u32 v[76:77], s[2:3], s24, v5, v[76:77]
	s_add_u32 s18, s18, 8
	v_add3_u32 v77, v6, v77, v1
	s_addc_u32 s19, s19, 0
	v_mov_b64_e32 v[6:7], s[10:11]
	s_add_u32 s20, s20, 8
	v_cmp_ge_u64_e32 vcc, s[22:23], v[6:7]
	s_addc_u32 s21, s21, 0
	s_cbranch_vccnz .LBB0_9
; %bb.7:                                ;   in Loop: Header=BB0_2 Depth=1
	v_mov_b64_e32 v[6:7], v[80:81]
	s_branch .LBB0_2
.LBB0_8:
	v_mov_b64_e32 v[76:77], v[2:3]
	v_mov_b64_e32 v[80:81], v[6:7]
.LBB0_9:
	s_load_dwordx2 s[18:19], s[0:1], 0x28
	s_lshl_b64 s[16:17], s[10:11], 3
	s_add_u32 s2, s14, s16
	s_addc_u32 s3, s15, s17
                                        ; implicit-def: $vgpr78
                                        ; implicit-def: $vgpr82
	s_waitcnt lgkmcnt(0)
	v_cmp_gt_u64_e64 s[0:1], s[18:19], v[80:81]
	v_cmp_le_u64_e32 vcc, s[18:19], v[80:81]
	s_and_saveexec_b64 s[10:11], vcc
	s_xor_b64 s[10:11], exec, s[10:11]
; %bb.10:
	s_mov_b32 s14, 0x253c826
	v_mul_hi_u32 v1, v0, s14
	v_mul_u32_u24_e32 v1, 0x6e, v1
	v_sub_u32_e32 v78, v0, v1
	v_add_u32_e32 v82, 0x6e, v78
                                        ; implicit-def: $vgpr0
                                        ; implicit-def: $vgpr2_vgpr3
; %bb.11:
	s_andn2_saveexec_b64 s[10:11], s[10:11]
	s_cbranch_execz .LBB0_13
; %bb.12:
	s_add_u32 s12, s12, s16
	s_addc_u32 s13, s13, s17
	s_load_dwordx2 s[12:13], s[12:13], 0x0
	s_mov_b32 s14, 0x253c826
	v_mov_b32_e32 v61, 0
	s_waitcnt lgkmcnt(0)
	v_mul_lo_u32 v1, s13, v80
	v_mul_lo_u32 v6, s12, v81
	v_mad_u64_u32 v[4:5], s[12:13], s12, v80, 0
	v_add3_u32 v5, v5, v6, v1
	v_mul_hi_u32 v1, v0, s14
	v_mul_u32_u24_e32 v1, 0x6e, v1
	v_sub_u32_e32 v78, v0, v1
	v_lshl_add_u64 v[0:1], v[4:5], 4, s[4:5]
	v_lshl_add_u64 v[0:1], v[2:3], 4, v[0:1]
	v_lshlrev_b32_e32 v60, 4, v78
	v_lshl_add_u64 v[48:49], v[0:1], 0, v[60:61]
	s_movk_i32 s4, 0x1000
	v_add_co_u32_e32 v40, vcc, s4, v48
	s_movk_i32 s5, 0x2000
	s_nop 0
	v_addc_co_u32_e32 v41, vcc, 0, v49, vcc
	v_add_co_u32_e32 v42, vcc, s5, v48
	s_movk_i32 s12, 0x3000
	s_nop 0
	v_addc_co_u32_e32 v43, vcc, 0, v49, vcc
	;; [unrolled: 4-line block ×3, first 2 shown]
	v_add_co_u32_e32 v50, vcc, s13, v48
	global_load_dwordx4 v[0:3], v[48:49], off
	global_load_dwordx4 v[4:7], v[48:49], off offset:1760
	v_addc_co_u32_e32 v51, vcc, 0, v49, vcc
	v_add_co_u32_e32 v62, vcc, 0x5000, v48
	global_load_dwordx4 v[8:11], v[48:49], off offset:3520
	global_load_dwordx4 v[12:15], v[40:41], off offset:1184
	;; [unrolled: 1-line block ×8, first 2 shown]
	v_addc_co_u32_e32 v63, vcc, 0, v49, vcc
	v_add_co_u32_e32 v64, vcc, 0x6000, v48
	global_load_dwordx4 v[40:43], v[50:51], off offset:1216
	global_load_dwordx4 v[44:47], v[50:51], off offset:2976
	v_addc_co_u32_e32 v65, vcc, 0, v49, vcc
	global_load_dwordx4 v[48:51], v[62:63], off offset:640
	global_load_dwordx4 v[52:55], v[62:63], off offset:2400
	;; [unrolled: 1-line block ×3, first 2 shown]
	v_add_u32_e32 v82, 0x6e, v78
	v_add_u32_e32 v60, 0, v60
	s_waitcnt vmcnt(14)
	ds_write_b128 v60, v[0:3]
	s_waitcnt vmcnt(13)
	ds_write_b128 v60, v[4:7] offset:1760
	s_waitcnt vmcnt(12)
	ds_write_b128 v60, v[8:11] offset:3520
	s_waitcnt vmcnt(11)
	ds_write_b128 v60, v[12:15] offset:5280
	s_waitcnt vmcnt(10)
	ds_write_b128 v60, v[16:19] offset:7040
	s_waitcnt vmcnt(9)
	ds_write_b128 v60, v[20:23] offset:8800
	s_waitcnt vmcnt(8)
	ds_write_b128 v60, v[24:27] offset:10560
	s_waitcnt vmcnt(7)
	ds_write_b128 v60, v[28:31] offset:12320
	s_waitcnt vmcnt(6)
	ds_write_b128 v60, v[32:35] offset:14080
	s_waitcnt vmcnt(5)
	ds_write_b128 v60, v[36:39] offset:15840
	s_waitcnt vmcnt(4)
	ds_write_b128 v60, v[40:43] offset:17600
	s_waitcnt vmcnt(3)
	ds_write_b128 v60, v[44:47] offset:19360
	s_waitcnt vmcnt(2)
	ds_write_b128 v60, v[48:51] offset:21120
	s_waitcnt vmcnt(1)
	ds_write_b128 v60, v[52:55] offset:22880
	s_waitcnt vmcnt(0)
	ds_write_b128 v60, v[56:59] offset:24640
.LBB0_13:
	s_or_b64 exec, exec, s[10:11]
	v_lshl_add_u32 v148, v78, 4, 0
	s_load_dwordx2 s[4:5], s[2:3], 0x0
	s_waitcnt lgkmcnt(0)
	s_barrier
	ds_read_b128 v[48:51], v148
	ds_read_b128 v[0:3], v148 offset:1760
	ds_read_b128 v[84:87], v148 offset:2400
	;; [unrolled: 1-line block ×11, first 2 shown]
	s_waitcnt lgkmcnt(9)
	v_add_f64 v[24:25], v[48:49], v[84:85]
	v_add_f64 v[26:27], v[50:51], v[86:87]
	ds_read_b128 v[60:63], v148 offset:14400
	s_waitcnt lgkmcnt(8)
	v_add_f64 v[24:25], v[24:25], v[72:73]
	v_add_f64 v[26:27], v[26:27], v[74:75]
	s_waitcnt lgkmcnt(6)
	v_add_f64 v[24:25], v[24:25], v[64:65]
	v_add_f64 v[26:27], v[26:27], v[66:67]
	;; [unrolled: 3-line block ×4, first 2 shown]
	ds_read_b128 v[24:27], v148 offset:16160
	ds_read_b128 v[68:71], v148 offset:16800
	s_waitcnt lgkmcnt(2)
	v_add_f64 v[32:33], v[28:29], v[60:61]
	v_add_f64 v[34:35], v[30:31], v[62:63]
	ds_read_b128 v[28:31], v148 offset:18560
	ds_read_b128 v[104:107], v148 offset:19200
	s_mov_b32 s16, 0xf8bb580b
	s_waitcnt lgkmcnt(2)
	v_add_f64 v[36:37], v[32:33], v[68:69]
	v_add_f64 v[38:39], v[34:35], v[70:71]
	ds_read_b128 v[32:35], v148 offset:20960
	ds_read_b128 v[88:91], v148 offset:21600
	s_waitcnt lgkmcnt(2)
	v_add_f64 v[40:41], v[36:37], v[104:105]
	v_add_f64 v[42:43], v[38:39], v[106:107]
	ds_read_b128 v[108:111], v148 offset:24000
	ds_read_b128 v[36:39], v148 offset:23360
	s_mov_b32 s20, 0x8eee2c13
	s_mov_b32 s22, 0x43842ef
	;; [unrolled: 1-line block ×4, first 2 shown]
	s_waitcnt lgkmcnt(1)
	v_add_f64 v[102:103], v[86:87], -v[110:111]
	s_mov_b32 s17, 0xbfe14ced
	s_mov_b32 s2, 0x8764f0ba
	;; [unrolled: 1-line block ×10, first 2 shown]
	v_add_f64 v[44:45], v[40:41], v[88:89]
	v_add_f64 v[46:47], v[42:43], v[90:91]
	v_add_f64 v[100:101], v[84:85], v[108:109]
	v_add_f64 v[96:97], v[86:87], v[110:111]
	v_add_f64 v[94:95], v[84:85], -v[108:109]
	v_add_f64 v[84:85], v[72:73], v[88:89]
	v_add_f64 v[86:87], v[74:75], v[90:91]
	v_add_f64 v[72:73], v[72:73], -v[88:89]
	v_add_f64 v[74:75], v[74:75], -v[90:91]
	v_add_f64 v[88:89], v[64:65], v[104:105]
	v_add_f64 v[90:91], v[66:67], v[106:107]
	v_add_f64 v[64:65], v[64:65], -v[104:105]
	v_add_f64 v[66:67], v[66:67], -v[106:107]
	v_add_f64 v[92:93], v[56:57], v[68:69]
	v_add_f64 v[68:69], v[56:57], -v[68:69]
	v_add_f64 v[106:107], v[52:53], v[60:61]
	v_add_f64 v[104:105], v[52:53], -v[60:61]
	s_mov_b32 s3, 0x3feaeb8c
	v_mul_f64 v[52:53], v[102:103], s[16:17]
	s_mov_b32 s11, 0x3fda9628
	v_mul_f64 v[56:57], v[102:103], s[20:21]
	;; [unrolled: 2-line block ×4, first 2 shown]
	v_mul_f64 v[102:103], v[102:103], s[26:27]
	s_mov_b32 s19, 0xbfeeb42a
	v_add_f64 v[44:45], v[44:45], v[108:109]
	v_add_f64 v[46:47], v[46:47], v[110:111]
	;; [unrolled: 1-line block ×3, first 2 shown]
	v_add_f64 v[70:71], v[58:59], -v[70:71]
	v_add_f64 v[108:109], v[54:55], v[62:63]
	v_add_f64 v[110:111], v[54:55], -v[62:63]
	v_fma_f64 v[54:55], s[2:3], v[100:101], v[52:53]
	v_fma_f64 v[52:53], v[100:101], s[2:3], -v[52:53]
	v_fma_f64 v[58:59], s[10:11], v[100:101], v[56:57]
	v_fma_f64 v[56:57], v[100:101], s[10:11], -v[56:57]
	;; [unrolled: 2-line block ×5, first 2 shown]
	s_mov_b32 s29, 0x3fe14ced
	s_mov_b32 s28, s16
	v_mul_f64 v[102:103], v[96:97], s[2:3]
	v_fma_f64 v[118:119], s[28:29], v[94:95], v[102:103]
	s_mov_b32 s37, 0x3fed1bb4
	s_mov_b32 s36, s20
	v_mul_f64 v[120:121], v[96:97], s[10:11]
	s_mov_b32 s31, 0x3fefac9e
	s_mov_b32 s30, s22
	v_mul_f64 v[124:125], v[96:97], s[12:13]
	s_mov_b32 s39, 0x3fe82f19
	s_mov_b32 s38, s24
	v_mul_f64 v[128:129], v[96:97], s[14:15]
	v_mul_f64 v[96:97], v[96:97], s[18:19]
	s_mov_b32 s35, 0x3fd207e7
	s_mov_b32 s34, s26
	v_fmac_f64_e32 v[102:103], s[16:17], v[94:95]
	v_fma_f64 v[122:123], s[36:37], v[94:95], v[120:121]
	v_fmac_f64_e32 v[120:121], s[20:21], v[94:95]
	v_fma_f64 v[126:127], s[30:31], v[94:95], v[124:125]
	;; [unrolled: 2-line block ×4, first 2 shown]
	v_fmac_f64_e32 v[96:97], s[26:27], v[94:95]
	v_add_f64 v[54:55], v[48:49], v[54:55]
	v_add_f64 v[94:95], v[50:51], v[118:119]
	v_add_f64 v[118:119], v[48:49], v[52:53]
	v_add_f64 v[58:59], v[48:49], v[58:59]
	v_add_f64 v[56:57], v[48:49], v[56:57]
	v_add_f64 v[134:135], v[48:49], v[62:63]
	v_add_f64 v[136:137], v[48:49], v[60:61]
	v_add_f64 v[114:115], v[48:49], v[114:115]
	v_add_f64 v[138:139], v[48:49], v[112:113]
	v_add_f64 v[140:141], v[48:49], v[116:117]
	v_add_f64 v[142:143], v[48:49], v[100:101]
	v_mul_f64 v[48:49], v[74:75], s[20:21]
	v_mul_f64 v[60:61], v[86:87], s[10:11]
	v_add_f64 v[102:103], v[50:51], v[102:103]
	v_add_f64 v[122:123], v[50:51], v[122:123]
	;; [unrolled: 1-line block ×9, first 2 shown]
	v_fma_f64 v[50:51], s[10:11], v[84:85], v[48:49]
	v_fma_f64 v[52:53], s[36:37], v[72:73], v[60:61]
	v_mul_f64 v[62:63], v[66:67], s[22:23]
	v_add_f64 v[50:51], v[50:51], v[54:55]
	v_add_f64 v[52:53], v[52:53], v[94:95]
	v_fma_f64 v[54:55], s[12:13], v[88:89], v[62:63]
	v_mul_f64 v[94:95], v[90:91], s[12:13]
	v_add_f64 v[50:51], v[54:55], v[50:51]
	v_fma_f64 v[54:55], s[30:31], v[64:65], v[94:95]
	v_mul_f64 v[96:97], v[70:71], s[24:25]
	;; [unrolled: 3-line block ×4, first 2 shown]
	v_fmac_f64_e32 v[60:61], s[20:21], v[72:73]
	v_add_f64 v[54:55], v[54:55], v[52:53]
	v_fma_f64 v[52:53], s[18:19], v[106:107], v[112:113]
	v_fma_f64 v[48:49], v[84:85], s[10:11], -v[48:49]
	v_add_f64 v[60:61], v[60:61], v[102:103]
	v_fmac_f64_e32 v[94:95], s[22:23], v[64:65]
	v_add_f64 v[52:53], v[52:53], v[50:51]
	v_mul_f64 v[50:51], v[108:109], s[18:19]
	v_add_f64 v[48:49], v[48:49], v[118:119]
	v_fma_f64 v[62:63], v[88:89], s[12:13], -v[62:63]
	v_add_f64 v[60:61], v[94:95], v[60:61]
	v_fmac_f64_e32 v[100:101], s[24:25], v[68:69]
	v_fma_f64 v[116:117], s[34:35], v[104:105], v[50:51]
	v_add_f64 v[48:49], v[62:63], v[48:49]
	v_fma_f64 v[62:63], v[92:93], s[14:15], -v[96:97]
	v_add_f64 v[60:61], v[100:101], v[60:61]
	v_fmac_f64_e32 v[50:51], s[26:27], v[104:105]
	v_mul_f64 v[94:95], v[74:75], s[24:25]
	v_add_f64 v[48:49], v[62:63], v[48:49]
	v_fma_f64 v[62:63], v[106:107], s[18:19], -v[112:113]
	v_add_f64 v[50:51], v[50:51], v[60:61]
	v_fma_f64 v[60:61], s[14:15], v[84:85], v[94:95]
	v_mul_f64 v[96:97], v[86:87], s[14:15]
	v_mul_f64 v[100:101], v[66:67], s[34:35]
	v_add_f64 v[48:49], v[62:63], v[48:49]
	v_add_f64 v[58:59], v[60:61], v[58:59]
	v_fma_f64 v[60:61], s[38:39], v[72:73], v[96:97]
	v_fma_f64 v[62:63], s[18:19], v[88:89], v[100:101]
	v_mul_f64 v[102:103], v[90:91], s[18:19]
	v_add_f64 v[60:61], v[60:61], v[122:123]
	v_add_f64 v[58:59], v[62:63], v[58:59]
	v_fma_f64 v[62:63], s[26:27], v[64:65], v[102:103]
	v_mul_f64 v[112:113], v[70:71], s[30:31]
	v_add_f64 v[54:55], v[116:117], v[54:55]
	v_add_f64 v[60:61], v[62:63], v[60:61]
	v_fma_f64 v[62:63], s[12:13], v[92:93], v[112:113]
	v_mul_f64 v[116:117], v[98:99], s[12:13]
	v_add_f64 v[58:59], v[62:63], v[58:59]
	v_fma_f64 v[62:63], s[22:23], v[68:69], v[116:117]
	v_mul_f64 v[118:119], v[110:111], s[28:29]
	v_fma_f64 v[94:95], v[84:85], s[14:15], -v[94:95]
	v_fmac_f64_e32 v[96:97], s[24:25], v[72:73]
	v_add_f64 v[62:63], v[62:63], v[60:61]
	v_fma_f64 v[60:61], s[2:3], v[106:107], v[118:119]
	v_add_f64 v[56:57], v[94:95], v[56:57]
	v_add_f64 v[94:95], v[96:97], v[120:121]
	v_fmac_f64_e32 v[102:103], s[34:35], v[64:65]
	v_add_f64 v[60:61], v[60:61], v[58:59]
	v_mul_f64 v[58:59], v[108:109], s[2:3]
	v_add_f64 v[94:95], v[102:103], v[94:95]
	v_fmac_f64_e32 v[116:117], s[30:31], v[68:69]
	v_fma_f64 v[122:123], s[16:17], v[104:105], v[58:59]
	v_fma_f64 v[96:97], v[88:89], s[18:19], -v[100:101]
	v_add_f64 v[94:95], v[116:117], v[94:95]
	v_fmac_f64_e32 v[58:59], s[28:29], v[104:105]
	v_mul_f64 v[100:101], v[74:75], s[34:35]
	v_add_f64 v[56:57], v[96:97], v[56:57]
	v_fma_f64 v[96:97], v[92:93], s[12:13], -v[112:113]
	v_add_f64 v[58:59], v[58:59], v[94:95]
	v_fma_f64 v[94:95], s[18:19], v[84:85], v[100:101]
	v_mul_f64 v[112:113], v[66:67], s[36:37]
	v_add_f64 v[56:57], v[96:97], v[56:57]
	v_fma_f64 v[96:97], v[106:107], s[2:3], -v[118:119]
	v_add_f64 v[94:95], v[94:95], v[134:135]
	v_mul_f64 v[102:103], v[86:87], s[18:19]
	v_fma_f64 v[116:117], s[10:11], v[88:89], v[112:113]
	v_add_f64 v[56:57], v[96:97], v[56:57]
	v_fma_f64 v[96:97], s[26:27], v[72:73], v[102:103]
	v_add_f64 v[94:95], v[116:117], v[94:95]
	v_mul_f64 v[116:117], v[90:91], s[10:11]
	v_add_f64 v[96:97], v[96:97], v[126:127]
	v_fma_f64 v[118:119], s[20:21], v[64:65], v[116:117]
	v_add_f64 v[96:97], v[118:119], v[96:97]
	v_mul_f64 v[118:119], v[70:71], s[16:17]
	v_fma_f64 v[120:121], s[2:3], v[92:93], v[118:119]
	v_add_f64 v[94:95], v[120:121], v[94:95]
	v_mul_f64 v[120:121], v[98:99], s[2:3]
	v_fma_f64 v[100:101], v[84:85], s[18:19], -v[100:101]
	v_add_f64 v[62:63], v[122:123], v[62:63]
	v_fma_f64 v[122:123], s[28:29], v[68:69], v[120:121]
	v_add_f64 v[100:101], v[100:101], v[136:137]
	v_fmac_f64_e32 v[102:103], s[34:35], v[72:73]
	v_fma_f64 v[112:113], v[88:89], s[10:11], -v[112:113]
	v_add_f64 v[96:97], v[122:123], v[96:97]
	v_mul_f64 v[122:123], v[110:111], s[24:25]
	v_add_f64 v[102:103], v[102:103], v[124:125]
	v_add_f64 v[100:101], v[112:113], v[100:101]
	v_fmac_f64_e32 v[116:117], s[36:37], v[64:65]
	v_fma_f64 v[112:113], v[92:93], s[2:3], -v[118:119]
	v_add_f64 v[102:103], v[116:117], v[102:103]
	v_add_f64 v[100:101], v[112:113], v[100:101]
	v_fmac_f64_e32 v[120:121], s[16:17], v[68:69]
	v_fma_f64 v[112:113], v[106:107], s[14:15], -v[122:123]
	v_mul_f64 v[116:117], v[74:75], s[30:31]
	v_add_f64 v[102:103], v[120:121], v[102:103]
	v_add_f64 v[100:101], v[112:113], v[100:101]
	v_fma_f64 v[112:113], s[12:13], v[84:85], v[116:117]
	v_mul_f64 v[120:121], v[66:67], s[16:17]
	v_fma_f64 v[126:127], s[14:15], v[106:107], v[122:123]
	v_add_f64 v[112:113], v[112:113], v[114:115]
	v_mul_f64 v[118:119], v[86:87], s[12:13]
	v_fma_f64 v[122:123], s[2:3], v[88:89], v[120:121]
	v_fma_f64 v[114:115], s[22:23], v[72:73], v[118:119]
	v_add_f64 v[112:113], v[122:123], v[112:113]
	v_mul_f64 v[122:123], v[90:91], s[2:3]
	v_add_f64 v[94:95], v[126:127], v[94:95]
	v_mul_f64 v[126:127], v[108:109], s[14:15]
	v_add_f64 v[114:115], v[114:115], v[130:131]
	v_fma_f64 v[124:125], s[28:29], v[64:65], v[122:123]
	v_fma_f64 v[134:135], s[38:39], v[104:105], v[126:127]
	v_fmac_f64_e32 v[126:127], s[24:25], v[104:105]
	v_add_f64 v[114:115], v[124:125], v[114:115]
	v_mul_f64 v[124:125], v[70:71], s[26:27]
	v_add_f64 v[102:103], v[126:127], v[102:103]
	v_fma_f64 v[126:127], s[18:19], v[92:93], v[124:125]
	v_add_f64 v[112:113], v[126:127], v[112:113]
	v_mul_f64 v[126:127], v[98:99], s[18:19]
	v_fma_f64 v[116:117], v[84:85], s[12:13], -v[116:117]
	v_fma_f64 v[130:131], s[34:35], v[68:69], v[126:127]
	v_add_f64 v[116:117], v[116:117], v[138:139]
	v_fma_f64 v[120:121], v[88:89], s[2:3], -v[120:121]
	v_add_f64 v[114:115], v[130:131], v[114:115]
	v_mul_f64 v[130:131], v[110:111], s[36:37]
	v_add_f64 v[116:117], v[120:121], v[116:117]
	v_fma_f64 v[120:121], v[92:93], s[18:19], -v[124:125]
	v_fmac_f64_e32 v[118:119], s[30:31], v[72:73]
	v_add_f64 v[116:117], v[120:121], v[116:117]
	v_fma_f64 v[120:121], v[106:107], s[10:11], -v[130:131]
	v_mul_f64 v[74:75], v[74:75], s[28:29]
	v_add_f64 v[118:119], v[118:119], v[128:129]
	v_fmac_f64_e32 v[122:123], s[16:17], v[64:65]
	v_add_f64 v[116:117], v[120:121], v[116:117]
	v_fma_f64 v[120:121], s[2:3], v[84:85], v[74:75]
	v_mul_f64 v[86:87], v[86:87], s[2:3]
	v_mul_f64 v[66:67], v[66:67], s[24:25]
	v_add_f64 v[118:119], v[122:123], v[118:119]
	v_add_f64 v[120:121], v[120:121], v[140:141]
	v_fma_f64 v[122:123], s[16:17], v[72:73], v[86:87]
	v_fma_f64 v[124:125], s[14:15], v[88:89], v[66:67]
	v_mul_f64 v[90:91], v[90:91], s[14:15]
	v_add_f64 v[122:123], v[122:123], v[132:133]
	v_add_f64 v[120:121], v[124:125], v[120:121]
	v_fma_f64 v[124:125], s[38:39], v[64:65], v[90:91]
	v_mul_f64 v[70:71], v[70:71], s[36:37]
	ds_read_b128 v[40:43], v148 offset:25760
	v_add_f64 v[122:123], v[124:125], v[122:123]
	v_fma_f64 v[124:125], s[10:11], v[92:93], v[70:71]
	v_mul_f64 v[98:99], v[98:99], s[10:11]
	v_fma_f64 v[74:75], v[84:85], s[2:3], -v[74:75]
	v_fmac_f64_e32 v[86:87], s[28:29], v[72:73]
	v_add_f64 v[96:97], v[134:135], v[96:97]
	v_fma_f64 v[134:135], s[10:11], v[106:107], v[130:131]
	v_add_f64 v[120:121], v[124:125], v[120:121]
	v_fma_f64 v[124:125], s[20:21], v[68:69], v[98:99]
	v_mul_f64 v[110:111], v[110:111], s[22:23]
	v_add_f64 v[74:75], v[74:75], v[142:143]
	v_add_f64 v[72:73], v[86:87], v[144:145]
	v_fma_f64 v[66:67], v[88:89], s[14:15], -v[66:67]
	v_fmac_f64_e32 v[90:91], s[24:25], v[64:65]
	v_add_f64 v[112:113], v[134:135], v[112:113]
	v_mul_f64 v[134:135], v[108:109], s[10:11]
	v_add_f64 v[122:123], v[124:125], v[122:123]
	v_fma_f64 v[124:125], s[12:13], v[106:107], v[110:111]
	v_mul_f64 v[108:109], v[108:109], s[12:13]
	v_add_f64 v[66:67], v[66:67], v[74:75]
	v_add_f64 v[64:65], v[90:91], v[72:73]
	v_fma_f64 v[70:71], v[92:93], s[10:11], -v[70:71]
	v_fmac_f64_e32 v[98:99], s[36:37], v[68:69]
	v_fmac_f64_e32 v[126:127], s[26:27], v[68:69]
	v_add_f64 v[120:121], v[124:125], v[120:121]
	v_fma_f64 v[124:125], s[30:31], v[104:105], v[108:109]
	v_add_f64 v[66:67], v[70:71], v[66:67]
	v_add_f64 v[68:69], v[98:99], v[64:65]
	v_fma_f64 v[64:65], v[106:107], s[12:13], -v[110:111]
	v_fmac_f64_e32 v[108:109], s[22:23], v[104:105]
	s_movk_i32 s33, 0xa0
	v_fma_f64 v[136:137], s[20:21], v[104:105], v[134:135]
	v_add_f64 v[118:119], v[126:127], v[118:119]
	v_fmac_f64_e32 v[134:135], s[36:37], v[104:105]
	v_add_f64 v[64:65], v[64:65], v[66:67]
	v_add_f64 v[66:67], v[108:109], v[68:69]
	v_mad_u32_u24 v68, v78, s33, v148
	v_add_f64 v[114:115], v[136:137], v[114:115]
	v_add_f64 v[118:119], v[134:135], v[118:119]
	;; [unrolled: 1-line block ×3, first 2 shown]
	s_waitcnt lgkmcnt(0)
	s_barrier
	ds_write_b128 v68, v[44:47]
	ds_write_b128 v68, v[52:55] offset:16
	ds_write_b128 v68, v[60:63] offset:32
	;; [unrolled: 1-line block ×8, first 2 shown]
	v_add_f64 v[64:65], v[6:7], -v[42:43]
	v_add_f64 v[60:61], v[4:5], v[40:41]
	v_mul_f64 v[108:109], v[64:65], s[22:23]
	v_add_f64 v[74:75], v[10:11], -v[38:39]
	v_fma_f64 v[44:45], s[12:13], v[60:61], v[108:109]
	v_add_f64 v[62:63], v[8:9], v[36:37]
	v_mul_f64 v[110:111], v[74:75], s[34:35]
	v_add_f64 v[92:93], v[4:5], -v[40:41]
	ds_write_b128 v68, v[56:59] offset:144
	v_add_f64 v[44:45], v[0:1], v[44:45]
	ds_write_b128 v68, v[48:51] offset:160
	v_fma_f64 v[46:47], s[18:19], v[62:63], v[110:111]
	v_add_f64 v[68:69], v[6:7], v[42:43]
	v_mul_f64 v[112:113], v[92:93], s[22:23]
	v_add_f64 v[94:95], v[8:9], -v[36:37]
	v_add_f64 v[44:45], v[46:47], v[44:45]
	v_fma_f64 v[46:47], v[68:69], s[12:13], -v[112:113]
	v_add_f64 v[70:71], v[10:11], v[38:39]
	v_mul_f64 v[116:117], v[94:95], s[34:35]
	v_add_f64 v[88:89], v[14:15], -v[34:35]
	v_add_f64 v[46:47], v[2:3], v[46:47]
	v_fma_f64 v[48:49], v[70:71], s[18:19], -v[116:117]
	v_add_f64 v[66:67], v[12:13], v[32:33]
	v_mul_f64 v[114:115], v[88:89], s[36:37]
	v_add_f64 v[100:101], v[12:13], -v[32:33]
	v_add_f64 v[46:47], v[48:49], v[46:47]
	v_fma_f64 v[48:49], s[10:11], v[66:67], v[114:115]
	v_add_f64 v[84:85], v[14:15], v[34:35]
	v_mul_f64 v[120:121], v[100:101], s[36:37]
	v_add_f64 v[98:99], v[18:19], -v[30:31]
	v_add_f64 v[44:45], v[48:49], v[44:45]
	v_fma_f64 v[48:49], v[84:85], s[10:11], -v[120:121]
	v_add_f64 v[72:73], v[16:17], v[28:29]
	v_mul_f64 v[118:119], v[98:99], s[16:17]
	v_add_f64 v[104:105], v[16:17], -v[28:29]
	v_add_f64 v[46:47], v[48:49], v[46:47]
	v_fma_f64 v[48:49], s[2:3], v[72:73], v[118:119]
	;; [unrolled: 10-line block ×3, first 2 shown]
	v_add_f64 v[96:97], v[22:23], v[26:27]
	v_mul_f64 v[126:127], v[106:107], s[24:25]
	v_add_f64 v[44:45], v[48:49], v[44:45]
	v_fma_f64 v[48:49], v[96:97], s[14:15], -v[126:127]
	v_mul_f64 v[128:129], v[64:65], s[24:25]
	v_add_f64 v[46:47], v[48:49], v[46:47]
	v_fma_f64 v[48:49], s[14:15], v[60:61], v[128:129]
	v_mul_f64 v[130:131], v[74:75], s[30:31]
	v_add_f64 v[48:49], v[0:1], v[48:49]
	v_fma_f64 v[50:51], s[12:13], v[62:63], v[130:131]
	v_mul_f64 v[136:137], v[92:93], s[24:25]
	v_add_f64 v[48:49], v[50:51], v[48:49]
	v_fma_f64 v[50:51], v[68:69], s[14:15], -v[136:137]
	v_mul_f64 v[140:141], v[94:95], s[30:31]
	v_add_f64 v[50:51], v[2:3], v[50:51]
	v_fma_f64 v[52:53], v[70:71], s[12:13], -v[140:141]
	v_mul_f64 v[132:133], v[88:89], s[16:17]
	v_add_f64 v[50:51], v[52:53], v[50:51]
	v_fma_f64 v[52:53], s[2:3], v[66:67], v[132:133]
	v_mul_f64 v[142:143], v[100:101], s[16:17]
	v_add_f64 v[48:49], v[52:53], v[48:49]
	v_fma_f64 v[52:53], v[84:85], s[2:3], -v[142:143]
	v_mul_f64 v[134:135], v[98:99], s[26:27]
	v_add_f64 v[50:51], v[52:53], v[50:51]
	v_fma_f64 v[52:53], s[18:19], v[72:73], v[134:135]
	;; [unrolled: 6-line block ×3, first 2 shown]
	v_mul_f64 v[146:147], v[106:107], s[36:37]
	v_add_f64 v[48:49], v[52:53], v[48:49]
	v_fma_f64 v[52:53], v[96:97], s[10:11], -v[146:147]
	v_add_f64 v[50:51], v[52:53], v[50:51]
	v_cmp_gt_u32_e32 vcc, 40, v78
	s_and_saveexec_b64 s[38:39], vcc
	s_cbranch_execz .LBB0_15
; %bb.14:
	v_mul_f64 v[154:155], v[92:93], s[26:27]
	v_mul_f64 v[150:151], v[94:95], s[28:29]
	v_fma_f64 v[156:157], s[18:19], v[68:69], v[154:155]
	v_mul_f64 v[58:59], v[100:101], s[24:25]
	v_fma_f64 v[152:153], s[2:3], v[70:71], v[150:151]
	v_add_f64 v[156:157], v[2:3], v[156:157]
	v_mul_f64 v[56:57], v[104:105], s[36:37]
	v_fma_f64 v[54:55], s[14:15], v[84:85], v[58:59]
	v_add_f64 v[152:153], v[152:153], v[156:157]
	;; [unrolled: 3-line block ×3, first 2 shown]
	v_mul_f64 v[158:159], v[74:75], s[28:29]
	v_fma_f64 v[162:163], v[60:61], s[18:19], -v[160:161]
	v_add_f64 v[52:53], v[52:53], v[54:55]
	v_mul_f64 v[156:157], v[88:89], s[24:25]
	v_fma_f64 v[54:55], v[62:63], s[2:3], -v[158:159]
	v_add_f64 v[162:163], v[0:1], v[162:163]
	v_mul_f64 v[152:153], v[98:99], s[36:37]
	v_add_f64 v[54:55], v[54:55], v[162:163]
	v_fma_f64 v[162:163], v[66:67], s[14:15], -v[156:157]
	v_fma_f64 v[154:155], v[68:69], s[18:19], -v[154:155]
	v_add_f64 v[54:55], v[162:163], v[54:55]
	v_fma_f64 v[162:163], v[72:73], s[10:11], -v[152:153]
	v_mul_f64 v[164:165], v[106:107], s[22:23]
	v_fma_f64 v[150:151], v[70:71], s[2:3], -v[150:151]
	v_add_f64 v[154:155], v[2:3], v[154:155]
	v_add_f64 v[162:163], v[162:163], v[54:55]
	v_fma_f64 v[54:55], s[12:13], v[96:97], v[164:165]
	v_mul_f64 v[166:167], v[102:103], s[22:23]
	v_add_f64 v[150:151], v[150:151], v[154:155]
	v_fma_f64 v[58:59], v[84:85], s[14:15], -v[58:59]
	v_add_f64 v[54:55], v[54:55], v[52:53]
	v_fma_f64 v[52:53], v[86:87], s[12:13], -v[166:167]
	;; [unrolled: 2-line block ×3, first 2 shown]
	v_fmac_f64_e32 v[160:161], s[18:19], v[60:61]
	v_add_f64 v[52:53], v[52:53], v[162:163]
	v_add_f64 v[56:57], v[56:57], v[58:59]
	v_fmac_f64_e32 v[158:159], s[2:3], v[62:63]
	v_add_f64 v[58:59], v[0:1], v[160:161]
	v_mul_f64 v[162:163], v[96:97], s[10:11]
	v_add_f64 v[58:59], v[158:159], v[58:59]
	v_fmac_f64_e32 v[156:157], s[14:15], v[66:67]
	v_add_f64 v[146:147], v[146:147], v[162:163]
	v_mul_f64 v[162:163], v[90:91], s[18:19]
	v_add_f64 v[58:59], v[156:157], v[58:59]
	v_mul_f64 v[156:157], v[68:69], s[14:15]
	;; [unrolled: 2-line block ×4, first 2 shown]
	v_add_f64 v[136:137], v[136:137], v[156:157]
	v_fmac_f64_e32 v[152:153], s[10:11], v[72:73]
	v_add_f64 v[140:141], v[140:141], v[162:163]
	v_add_f64 v[136:137], v[2:3], v[136:137]
	v_mul_f64 v[154:155], v[68:69], s[12:13]
	v_mul_f64 v[158:159], v[60:61], s[14:15]
	v_add_f64 v[152:153], v[152:153], v[58:59]
	v_fma_f64 v[58:59], v[96:97], s[12:13], -v[164:165]
	v_fmac_f64_e32 v[166:167], s[12:13], v[86:87]
	v_add_f64 v[136:137], v[140:141], v[136:137]
	v_add_f64 v[58:59], v[58:59], v[56:57]
	;; [unrolled: 1-line block ×3, first 2 shown]
	v_mul_f64 v[152:153], v[70:71], s[18:19]
	v_mul_f64 v[162:163], v[62:63], s[12:13]
	v_add_f64 v[136:137], v[142:143], v[136:137]
	v_add_f64 v[128:129], v[158:159], -v[128:129]
	v_add_f64 v[112:113], v[112:113], v[154:155]
	v_mul_f64 v[150:151], v[60:61], s[12:13]
	v_mul_f64 v[140:141], v[84:85], s[10:11]
	;; [unrolled: 1-line block ×3, first 2 shown]
	v_add_f64 v[136:137], v[144:145], v[136:137]
	v_mul_f64 v[144:145], v[86:87], s[10:11]
	v_add_f64 v[162:163], v[162:163], -v[130:131]
	v_add_f64 v[128:129], v[0:1], v[128:129]
	v_add_f64 v[116:117], v[116:117], v[152:153]
	;; [unrolled: 1-line block ×3, first 2 shown]
	v_mul_f64 v[160:161], v[62:63], s[18:19]
	v_add_f64 v[138:139], v[144:145], -v[138:139]
	v_mul_f64 v[144:145], v[72:73], s[18:19]
	v_add_f64 v[132:133], v[142:143], -v[132:133]
	v_mul_f64 v[142:143], v[90:91], s[2:3]
	v_add_f64 v[128:129], v[162:163], v[128:129]
	v_add_f64 v[120:121], v[120:121], v[140:141]
	;; [unrolled: 1-line block ×3, first 2 shown]
	v_add_f64 v[108:109], v[150:151], -v[108:109]
	v_mul_f64 v[156:157], v[66:67], s[10:11]
	v_add_f64 v[134:135], v[144:145], -v[134:135]
	v_mul_f64 v[144:145], v[72:73], s[2:3]
	v_mul_f64 v[158:159], v[96:97], s[14:15]
	v_add_f64 v[128:129], v[132:133], v[128:129]
	v_add_f64 v[124:125], v[124:125], v[142:143]
	;; [unrolled: 1-line block ×3, first 2 shown]
	v_add_f64 v[110:111], v[160:161], -v[110:111]
	v_add_f64 v[108:109], v[0:1], v[108:109]
	v_mul_f64 v[132:133], v[92:93], s[20:21]
	v_add_f64 v[128:129], v[134:135], v[128:129]
	v_add_f64 v[126:127], v[126:127], v[158:159]
	;; [unrolled: 1-line block ×3, first 2 shown]
	v_add_f64 v[118:119], v[144:145], -v[118:119]
	v_add_f64 v[114:115], v[156:157], -v[114:115]
	v_add_f64 v[108:109], v[110:111], v[108:109]
	v_mul_f64 v[124:125], v[94:95], s[24:25]
	v_fma_f64 v[134:135], s[10:11], v[68:69], v[132:133]
	v_mul_f64 v[144:145], v[64:65], s[20:21]
	v_mul_f64 v[164:165], v[86:87], s[14:15]
	v_add_f64 v[130:131], v[146:147], v[136:137]
	v_add_f64 v[112:113], v[126:127], v[112:113]
	;; [unrolled: 1-line block ×3, first 2 shown]
	v_mul_f64 v[120:121], v[100:101], s[34:35]
	v_fma_f64 v[126:127], s[14:15], v[70:71], v[124:125]
	v_add_f64 v[134:135], v[2:3], v[134:135]
	v_mul_f64 v[140:141], v[74:75], s[24:25]
	v_fma_f64 v[146:147], v[60:61], s[10:11], -v[144:145]
	v_add_f64 v[116:117], v[164:165], -v[122:123]
	v_add_f64 v[108:109], v[118:119], v[108:109]
	v_mul_f64 v[118:119], v[104:105], s[30:31]
	v_fma_f64 v[122:123], s[18:19], v[84:85], v[120:121]
	v_add_f64 v[126:127], v[126:127], v[134:135]
	v_mul_f64 v[136:137], v[88:89], s[34:35]
	v_fma_f64 v[142:143], v[62:63], s[14:15], -v[140:141]
	v_add_f64 v[146:147], v[0:1], v[146:147]
	v_fma_f64 v[132:133], v[68:69], s[10:11], -v[132:133]
	v_add_f64 v[128:129], v[138:139], v[128:129]
	v_add_f64 v[110:111], v[116:117], v[108:109]
	v_mul_f64 v[108:109], v[106:107], s[28:29]
	v_fma_f64 v[116:117], s[12:13], v[90:91], v[118:119]
	v_add_f64 v[122:123], v[122:123], v[126:127]
	v_mul_f64 v[126:127], v[98:99], s[30:31]
	v_fma_f64 v[138:139], v[66:67], s[18:19], -v[136:137]
	v_add_f64 v[142:143], v[142:143], v[146:147]
	v_fma_f64 v[124:125], v[70:71], s[14:15], -v[124:125]
	v_add_f64 v[132:133], v[2:3], v[132:133]
	v_fma_f64 v[114:115], s[2:3], v[96:97], v[108:109]
	v_add_f64 v[116:117], v[116:117], v[122:123]
	v_mul_f64 v[122:123], v[102:103], s[28:29]
	v_fma_f64 v[134:135], v[72:73], s[12:13], -v[126:127]
	v_add_f64 v[138:139], v[138:139], v[142:143]
	v_fma_f64 v[120:121], v[84:85], s[18:19], -v[120:121]
	v_add_f64 v[124:125], v[124:125], v[132:133]
	v_add_f64 v[116:117], v[114:115], v[116:117]
	v_fma_f64 v[114:115], v[86:87], s[2:3], -v[122:123]
	v_add_f64 v[134:135], v[134:135], v[138:139]
	v_fma_f64 v[118:119], v[90:91], s[12:13], -v[118:119]
	v_add_f64 v[120:121], v[120:121], v[124:125]
	v_add_f64 v[114:115], v[114:115], v[134:135]
	v_fma_f64 v[108:109], v[96:97], s[2:3], -v[108:109]
	v_add_f64 v[118:119], v[118:119], v[120:121]
	v_fmac_f64_e32 v[144:145], s[10:11], v[60:61]
	v_mul_f64 v[132:133], v[92:93], s[16:17]
	v_mul_f64 v[134:135], v[64:65], s[16:17]
	v_add_f64 v[120:121], v[108:109], v[118:119]
	v_fmac_f64_e32 v[140:141], s[14:15], v[62:63]
	v_add_f64 v[108:109], v[0:1], v[144:145]
	v_fma_f64 v[92:93], s[2:3], v[68:69], v[132:133]
	v_fma_f64 v[64:65], v[60:61], s[2:3], -v[134:135]
	v_fma_f64 v[68:69], v[68:69], s[2:3], -v[132:133]
	v_fmac_f64_e32 v[134:135], s[2:3], v[60:61]
	v_fmac_f64_e32 v[136:137], s[18:19], v[66:67]
	v_add_f64 v[108:109], v[140:141], v[108:109]
	v_add_f64 v[92:93], v[2:3], v[92:93]
	;; [unrolled: 1-line block ×7, first 2 shown]
	v_fmac_f64_e32 v[126:127], s[12:13], v[72:73]
	v_add_f64 v[108:109], v[136:137], v[108:109]
	v_add_f64 v[2:3], v[2:3], v[10:11]
	;; [unrolled: 1-line block ×4, first 2 shown]
	v_mul_f64 v[126:127], v[94:95], s[20:21]
	v_add_f64 v[2:3], v[2:3], v[14:15]
	v_add_f64 v[0:1], v[0:1], v[12:13]
	v_mul_f64 v[100:101], v[100:101], s[22:23]
	v_fma_f64 v[94:95], s[10:11], v[70:71], v[126:127]
	v_add_f64 v[2:3], v[2:3], v[18:19]
	v_add_f64 v[0:1], v[0:1], v[16:17]
	v_fmac_f64_e32 v[122:123], s[2:3], v[86:87]
	v_mul_f64 v[104:105], v[104:105], s[24:25]
	v_fma_f64 v[124:125], s[12:13], v[84:85], v[100:101]
	v_add_f64 v[92:93], v[94:95], v[92:93]
	v_mul_f64 v[74:75], v[74:75], s[20:21]
	v_add_f64 v[2:3], v[2:3], v[22:23]
	v_add_f64 v[0:1], v[0:1], v[20:21]
	;; [unrolled: 1-line block ×3, first 2 shown]
	v_mul_f64 v[106:107], v[106:107], s[26:27]
	v_fma_f64 v[122:123], s[14:15], v[90:91], v[104:105]
	v_add_f64 v[92:93], v[124:125], v[92:93]
	v_mul_f64 v[88:89], v[88:89], s[22:23]
	v_fma_f64 v[124:125], v[62:63], s[10:11], -v[74:75]
	v_add_f64 v[2:3], v[2:3], v[26:27]
	v_add_f64 v[0:1], v[0:1], v[24:25]
	v_fma_f64 v[108:109], s[18:19], v[96:97], v[106:107]
	v_add_f64 v[92:93], v[122:123], v[92:93]
	v_mul_f64 v[98:99], v[98:99], s[24:25]
	v_fma_f64 v[122:123], v[66:67], s[12:13], -v[88:89]
	v_add_f64 v[64:65], v[124:125], v[64:65]
	v_fma_f64 v[70:71], v[70:71], s[10:11], -v[126:127]
	v_fmac_f64_e32 v[74:75], s[10:11], v[62:63]
	v_add_f64 v[2:3], v[2:3], v[30:31]
	v_add_f64 v[0:1], v[0:1], v[28:29]
	;; [unrolled: 1-line block ×3, first 2 shown]
	v_mul_f64 v[102:103], v[102:103], s[26:27]
	v_fma_f64 v[108:109], v[72:73], s[14:15], -v[98:99]
	v_add_f64 v[64:65], v[122:123], v[64:65]
	v_fma_f64 v[84:85], v[84:85], s[12:13], -v[100:101]
	v_add_f64 v[68:69], v[70:71], v[68:69]
	v_fmac_f64_e32 v[88:89], s[12:13], v[66:67]
	v_add_f64 v[60:61], v[74:75], v[60:61]
	v_add_f64 v[2:3], v[2:3], v[34:35]
	;; [unrolled: 1-line block ×3, first 2 shown]
	v_fma_f64 v[92:93], v[86:87], s[18:19], -v[102:103]
	v_add_f64 v[64:65], v[108:109], v[64:65]
	v_fma_f64 v[90:91], v[90:91], s[14:15], -v[104:105]
	v_add_f64 v[68:69], v[84:85], v[68:69]
	v_fmac_f64_e32 v[98:99], s[14:15], v[72:73]
	v_add_f64 v[60:61], v[88:89], v[60:61]
	v_add_f64 v[2:3], v[2:3], v[38:39]
	;; [unrolled: 1-line block ×3, first 2 shown]
	s_movk_i32 s2, 0xb0
	v_add_f64 v[92:93], v[92:93], v[64:65]
	v_fma_f64 v[64:65], v[96:97], s[18:19], -v[106:107]
	v_add_f64 v[68:69], v[90:91], v[68:69]
	v_fmac_f64_e32 v[102:103], s[18:19], v[86:87]
	v_add_f64 v[60:61], v[98:99], v[60:61]
	v_add_f64 v[2:3], v[2:3], v[42:43]
	;; [unrolled: 1-line block ×3, first 2 shown]
	v_mad_i32_i24 v4, v82, s2, 0
	v_add_f64 v[64:65], v[64:65], v[68:69]
	v_add_f64 v[62:63], v[102:103], v[60:61]
	ds_write_b128 v4, v[0:3]
	ds_write_b128 v4, v[62:65] offset:16
	ds_write_b128 v4, v[118:121] offset:32
	;; [unrolled: 1-line block ×10, first 2 shown]
.LBB0_15:
	s_or_b64 exec, exec, s[38:39]
	v_add_u32_e32 v74, 0xdc, v78
	v_add_u32_e32 v68, 0x1b8, v78
	;; [unrolled: 1-line block ×3, first 2 shown]
	v_lshl_add_u32 v67, v74, 4, 0
	v_add_u32_e32 v64, 0x226, v78
	v_lshl_add_u32 v84, v68, 4, 0
	s_waitcnt lgkmcnt(0)
	s_barrier
	v_lshl_add_u32 v65, v82, 4, 0
	ds_read_b128 v[20:23], v148 offset:13200
	ds_read_b128 v[24:27], v148 offset:14960
	v_lshl_add_u32 v85, v72, 4, 0
	ds_read_b128 v[16:19], v67
	ds_read_b128 v[12:15], v85
	ds_read_b128 v[40:43], v148 offset:16720
	ds_read_b128 v[36:39], v148 offset:18480
	v_lshl_add_u32 v71, v64, 4, 0
	ds_read_b128 v[8:11], v84
	ds_read_b128 v[4:7], v71
	ds_read_b128 v[56:59], v148 offset:20240
	ds_read_b128 v[52:55], v148 offset:22000
	ds_read_b128 v[28:31], v148
	ds_read_b128 v[0:3], v148 offset:10560
	ds_read_b128 v[32:35], v65
	ds_read_b128 v[60:63], v148 offset:23760
	v_cmp_gt_u32_e32 vcc, 55, v78
	s_and_saveexec_b64 s[2:3], vcc
	s_cbranch_execz .LBB0_17
; %bb.16:
	ds_read_b128 v[44:47], v148 offset:12320
	ds_read_b128 v[48:51], v148 offset:25520
.LBB0_17:
	s_or_b64 exec, exec, s[2:3]
	s_movk_i32 s2, 0x75
	s_mov_b32 s10, 0xba2f
	v_mul_lo_u16_sdwa v69, v78, s2 dst_sel:DWORD dst_unused:UNUSED_PAD src0_sel:BYTE_0 src1_sel:DWORD
	v_mul_u32_u24_sdwa v79, v74, s10 dst_sel:DWORD dst_unused:UNUSED_PAD src0_sel:WORD_0 src1_sel:DWORD
	v_sub_u16_sdwa v70, v78, v69 dst_sel:DWORD dst_unused:UNUSED_PAD src0_sel:DWORD src1_sel:BYTE_1
	v_lshrrev_b32_e32 v83, 19, v79
	v_lshrrev_b16_e32 v70, 1, v70
	v_mul_lo_u16_e32 v73, 11, v83
	v_mul_u32_u24_sdwa v75, v72, s10 dst_sel:DWORD dst_unused:UNUSED_PAD src0_sel:WORD_0 src1_sel:DWORD
	v_and_b32_e32 v70, 0x7f, v70
	v_sub_u16_e32 v73, v74, v73
	v_lshrrev_b32_e32 v125, 19, v75
	v_lshlrev_b32_e32 v124, 4, v73
	v_mul_lo_u16_e32 v73, 11, v125
	v_add_u16_sdwa v69, v70, v69 dst_sel:DWORD dst_unused:UNUSED_PAD src0_sel:DWORD src1_sel:BYTE_1
	v_sub_u16_e32 v73, v72, v73
	v_lshrrev_b16_e32 v133, 3, v69
	v_lshlrev_b32_e32 v126, 4, v73
	v_mul_u32_u24_sdwa v73, v68, s10 dst_sel:DWORD dst_unused:UNUSED_PAD src0_sel:WORD_0 src1_sel:DWORD
	v_mul_lo_u16_e32 v69, 11, v133
	v_lshrrev_b32_e32 v127, 19, v73
	v_sub_u16_e32 v70, v78, v69
	v_mov_b32_e32 v69, 4
	v_mul_lo_u16_e32 v94, 11, v127
	v_lshlrev_b32_sdwa v134, v69, v70 dst_sel:DWORD dst_unused:UNUSED_PAD src0_sel:DWORD src1_sel:BYTE_0
	v_mul_lo_u16_sdwa v70, v82, s2 dst_sel:DWORD dst_unused:UNUSED_PAD src0_sel:BYTE_0 src1_sel:DWORD
	v_add_u32_e32 v66, 0x294, v78
	v_sub_u16_e32 v94, v68, v94
	v_sub_u16_sdwa v106, v82, v70 dst_sel:DWORD dst_unused:UNUSED_PAD src0_sel:DWORD src1_sel:BYTE_1
	v_lshlrev_b32_e32 v128, 4, v94
	v_mul_u32_u24_sdwa v94, v64, s10 dst_sel:DWORD dst_unused:UNUSED_PAD src0_sel:WORD_0 src1_sel:DWORD
	v_mul_u32_u24_sdwa v102, v66, s10 dst_sel:DWORD dst_unused:UNUSED_PAD src0_sel:WORD_0 src1_sel:DWORD
	v_lshrrev_b16_e32 v106, 1, v106
	v_lshrrev_b32_e32 v129, 19, v94
	v_lshrrev_b32_e32 v131, 19, v102
	v_and_b32_e32 v106, 0x7f, v106
	v_mul_lo_u16_e32 v94, 11, v129
	v_mul_lo_u16_e32 v102, 11, v131
	v_add_u16_sdwa v70, v106, v70 dst_sel:DWORD dst_unused:UNUSED_PAD src0_sel:DWORD src1_sel:BYTE_1
	v_sub_u16_e32 v94, v64, v94
	v_sub_u16_e32 v102, v66, v102
	v_lshrrev_b16_e32 v135, 3, v70
	global_load_dwordx4 v[86:89], v124, s[8:9]
	global_load_dwordx4 v[90:93], v126, s[8:9]
	v_lshlrev_b32_e32 v130, 4, v94
	global_load_dwordx4 v[94:97], v128, s[8:9]
	global_load_dwordx4 v[98:101], v130, s[8:9]
	v_lshlrev_b32_e32 v132, 4, v102
	v_mul_lo_u16_e32 v70, 11, v135
	global_load_dwordx4 v[102:105], v132, s[8:9]
	global_load_dwordx4 v[106:109], v134, s[8:9]
	v_sub_u16_e32 v70, v82, v70
	v_lshlrev_b32_sdwa v136, v69, v70 dst_sel:DWORD dst_unused:UNUSED_PAD src0_sel:DWORD src1_sel:BYTE_0
	global_load_dwordx4 v[110:113], v136, s[8:9]
	s_waitcnt lgkmcnt(0)
	s_barrier
	s_mov_b32 s12, 0x5040100
	s_movk_i32 s2, 0x160
	v_add_u32_e32 v70, 0x302, v78
	s_waitcnt vmcnt(6)
	v_mul_f64 v[114:115], v[42:43], v[88:89]
	v_mul_f64 v[88:89], v[40:41], v[88:89]
	s_waitcnt vmcnt(5)
	v_mul_f64 v[116:117], v[38:39], v[92:93]
	v_mul_f64 v[92:93], v[36:37], v[92:93]
	s_waitcnt vmcnt(3)
	v_mul_f64 v[120:121], v[54:55], v[100:101]
	v_fmac_f64_e32 v[114:115], v[40:41], v[86:87]
	v_fma_f64 v[40:41], v[42:43], v[86:87], -v[88:89]
	v_mul_f64 v[100:101], v[52:53], v[100:101]
	v_fma_f64 v[42:43], v[38:39], v[90:91], -v[92:93]
	v_fmac_f64_e32 v[120:121], v[52:53], v[98:99]
	v_add_f64 v[38:39], v[18:19], -v[40:41]
	s_waitcnt vmcnt(1)
	v_mul_f64 v[40:41], v[22:23], v[108:109]
	v_mul_f64 v[52:53], v[20:21], v[108:109]
	;; [unrolled: 1-line block ×5, first 2 shown]
	v_fmac_f64_e32 v[40:41], v[20:21], v[106:107]
	v_fma_f64 v[22:23], v[22:23], v[106:107], -v[52:53]
	v_mul_f64 v[104:105], v[60:61], v[104:105]
	v_fmac_f64_e32 v[118:119], v[56:57], v[94:95]
	v_fma_f64 v[56:57], v[58:59], v[94:95], -v[96:97]
	v_fma_f64 v[58:59], v[54:55], v[98:99], -v[100:101]
	v_fmac_f64_e32 v[122:123], v[60:61], v[102:103]
	s_waitcnt vmcnt(0)
	v_mul_f64 v[54:55], v[26:27], v[112:113]
	v_mul_f64 v[60:61], v[24:25], v[112:113]
	v_add_f64 v[20:21], v[28:29], -v[40:41]
	v_add_f64 v[22:23], v[30:31], -v[22:23]
	v_mul_u32_u24_e32 v86, 0x160, v133
	v_fmac_f64_e32 v[54:55], v[24:25], v[110:111]
	v_fma_f64 v[26:27], v[26:27], v[110:111], -v[60:61]
	v_fma_f64 v[28:29], v[28:29], 2.0, -v[20:21]
	v_fma_f64 v[30:31], v[30:31], 2.0, -v[22:23]
	v_add3_u32 v86, 0, v86, v134
	v_add_f64 v[24:25], v[32:33], -v[54:55]
	v_add_f64 v[26:27], v[34:35], -v[26:27]
	ds_write_b128 v86, v[28:31]
	ds_write_b128 v86, v[20:23] offset:176
	v_mul_u32_u24_e32 v20, 0x160, v135
	v_fma_f64 v[32:33], v[32:33], 2.0, -v[24:25]
	v_fma_f64 v[34:35], v[34:35], 2.0, -v[26:27]
	v_add3_u32 v20, 0, v20, v136
	ds_write_b128 v20, v[32:35]
	ds_write_b128 v20, v[24:27] offset:176
	v_perm_b32 v20, v125, v83, s12
	v_pk_mul_lo_u16 v20, v20, s2 op_sel_hi:[1,0]
	v_fmac_f64_e32 v[116:117], v[36:37], v[90:91]
	v_add_f64 v[36:37], v[16:17], -v[114:115]
	v_and_b32_e32 v21, 0xffe0, v20
	v_fma_f64 v[16:17], v[16:17], 2.0, -v[36:37]
	v_fma_f64 v[18:19], v[18:19], 2.0, -v[38:39]
	v_add3_u32 v21, 0, v21, v124
	v_add_f64 v[40:41], v[12:13], -v[116:117]
	v_add_f64 v[42:43], v[14:15], -v[42:43]
	ds_write_b128 v21, v[16:19]
	ds_write_b128 v21, v[36:39] offset:176
	v_lshrrev_b32_e32 v16, 16, v20
	v_fma_f64 v[12:13], v[12:13], 2.0, -v[40:41]
	v_fma_f64 v[14:15], v[14:15], 2.0, -v[42:43]
	v_add3_u32 v16, 0, v16, v126
	ds_write_b128 v16, v[12:15]
	ds_write_b128 v16, v[40:43] offset:176
	v_perm_b32 v12, v129, v127, s12
	v_pk_mul_lo_u16 v12, v12, s2 op_sel_hi:[1,0]
	v_add_f64 v[52:53], v[8:9], -v[118:119]
	v_add_f64 v[54:55], v[10:11], -v[56:57]
	v_and_b32_e32 v13, 0xffe0, v12
	v_fma_f64 v[8:9], v[8:9], 2.0, -v[52:53]
	v_fma_f64 v[10:11], v[10:11], 2.0, -v[54:55]
	v_add3_u32 v13, 0, v13, v128
	v_add_f64 v[56:57], v[4:5], -v[120:121]
	v_add_f64 v[58:59], v[6:7], -v[58:59]
	ds_write_b128 v13, v[8:11]
	ds_write_b128 v13, v[52:55] offset:176
	v_lshrrev_b32_e32 v8, 16, v12
	v_fma_f64 v[62:63], v[62:63], v[102:103], -v[104:105]
	v_fma_f64 v[4:5], v[4:5], 2.0, -v[56:57]
	v_fma_f64 v[6:7], v[6:7], 2.0, -v[58:59]
	v_add3_u32 v8, 0, v8, v130
	v_add_f64 v[60:61], v[0:1], -v[122:123]
	v_add_f64 v[62:63], v[2:3], -v[62:63]
	ds_write_b128 v8, v[4:7]
	ds_write_b128 v8, v[56:59] offset:176
	v_mul_u32_u24_e32 v4, 0x160, v131
	v_fma_f64 v[0:1], v[0:1], 2.0, -v[60:61]
	v_fma_f64 v[2:3], v[2:3], 2.0, -v[62:63]
	v_add3_u32 v4, 0, v4, v132
	ds_write_b128 v4, v[0:3]
	ds_write_b128 v4, v[60:63] offset:176
	s_and_saveexec_b64 s[2:3], vcc
	s_cbranch_execz .LBB0_19
; %bb.18:
	v_mul_u32_u24_sdwa v0, v70, s10 dst_sel:DWORD dst_unused:UNUSED_PAD src0_sel:WORD_0 src1_sel:DWORD
	v_lshrrev_b32_e32 v4, 19, v0
	v_mul_lo_u16_e32 v0, 11, v4
	v_sub_u16_e32 v0, v70, v0
	v_lshlrev_b32_e32 v5, 4, v0
	global_load_dwordx4 v[0:3], v5, s[8:9]
	v_mul_lo_u16_e32 v4, 22, v4
	v_lshlrev_b32_e32 v4, 4, v4
	v_add3_u32 v8, 0, v5, v4
	s_waitcnt vmcnt(0)
	v_mul_f64 v[4:5], v[48:49], v[2:3]
	v_mul_f64 v[6:7], v[50:51], v[2:3]
	v_fma_f64 v[2:3], v[50:51], v[0:1], -v[4:5]
	v_fmac_f64_e32 v[6:7], v[48:49], v[0:1]
	v_add_f64 v[2:3], v[46:47], -v[2:3]
	v_add_f64 v[0:1], v[44:45], -v[6:7]
	v_fma_f64 v[6:7], v[46:47], 2.0, -v[2:3]
	v_fma_f64 v[4:5], v[44:45], 2.0, -v[0:1]
	ds_write_b128 v8, v[4:7]
	ds_write_b128 v8, v[0:3] offset:176
.LBB0_19:
	s_or_b64 exec, exec, s[2:3]
	v_lshrrev_b16_e32 v0, 1, v78
	v_and_b32_e32 v0, 0x7f, v0
	v_mul_lo_u16_e32 v0, 0xbb, v0
	v_lshrrev_b32_e32 v79, 20, v79
	v_lshrrev_b16_e32 v83, 11, v0
	v_mul_lo_u16_e32 v0, 22, v79
	v_sub_u16_e32 v132, v74, v0
	v_lshlrev_b32_e32 v0, 5, v132
	v_lshrrev_b32_e32 v75, 20, v75
	s_waitcnt lgkmcnt(0)
	s_barrier
	global_load_dwordx4 v[16:19], v0, s[8:9] offset:192
	global_load_dwordx4 v[20:23], v0, s[8:9] offset:176
	v_mul_lo_u16_e32 v0, 22, v75
	v_sub_u16_e32 v133, v72, v0
	v_lshlrev_b32_e32 v0, 5, v133
	v_lshrrev_b32_e32 v73, 20, v73
	global_load_dwordx4 v[24:27], v0, s[8:9] offset:192
	global_load_dwordx4 v[28:31], v0, s[8:9] offset:176
	v_mul_lo_u16_e32 v0, 22, v73
	v_mul_lo_u16_e32 v1, 22, v83
	v_sub_u16_e32 v134, v68, v0
	v_sub_u16_e32 v135, v78, v1
	v_mov_b32_e32 v1, 5
	v_lshlrev_b32_e32 v0, 5, v134
	v_lshlrev_b32_sdwa v2, v1, v135 dst_sel:DWORD dst_unused:UNUSED_PAD src0_sel:DWORD src1_sel:BYTE_0
	global_load_dwordx4 v[32:35], v0, s[8:9] offset:176
	global_load_dwordx4 v[36:39], v2, s[8:9] offset:192
	;; [unrolled: 1-line block ×3, first 2 shown]
	v_mov_b32_e32 v2, 1
	v_lshrrev_b16_sdwa v2, v2, v82 dst_sel:DWORD dst_unused:UNUSED_PAD src0_sel:DWORD src1_sel:BYTE_0
	v_mul_lo_u16_e32 v2, 0xbb, v2
	v_lshrrev_b16_e32 v136, 11, v2
	v_mul_lo_u16_e32 v2, 22, v136
	v_sub_u16_e32 v137, v82, v2
	v_lshlrev_b32_sdwa v1, v1, v137 dst_sel:DWORD dst_unused:UNUSED_PAD src0_sel:DWORD src1_sel:BYTE_0
	global_load_dwordx4 v[44:47], v1, s[8:9] offset:176
	global_load_dwordx4 v[48:51], v1, s[8:9] offset:192
	;; [unrolled: 1-line block ×3, first 2 shown]
	ds_read_b128 v[56:59], v71
	ds_read_b128 v[60:63], v148
	ds_read_b128 v[86:89], v148 offset:10560
	ds_read_b128 v[12:15], v65
	ds_read_b128 v[8:11], v67
	ds_read_b128 v[90:93], v148 offset:19360
	ds_read_b128 v[94:97], v148 offset:21120
	;; [unrolled: 1-line block ×4, first 2 shown]
	ds_read_b128 v[4:7], v85
	ds_read_b128 v[0:3], v84
	ds_read_b128 v[106:109], v148 offset:17600
	ds_read_b128 v[110:113], v148 offset:15840
	;; [unrolled: 1-line block ×4, first 2 shown]
	s_mov_b32 s2, 0xe8584caa
	s_mov_b32 s3, 0xbfebb67a
	;; [unrolled: 1-line block ×4, first 2 shown]
	s_waitcnt lgkmcnt(0)
	s_barrier
	s_mov_b32 s17, 0x3fee6f0e
	s_mov_b32 s14, 0x372fe950
	;; [unrolled: 1-line block ×4, first 2 shown]
	s_movk_i32 s22, 0x1000
	s_mov_b64 s[20:21], 0x13f0
	s_waitcnt vmcnt(9)
	v_mul_f64 v[124:125], v[96:97], v[18:19]
	s_waitcnt vmcnt(8)
	v_mul_f64 v[122:123], v[100:101], v[22:23]
	v_mul_f64 v[22:23], v[98:99], v[22:23]
	;; [unrolled: 1-line block ×3, first 2 shown]
	v_fmac_f64_e32 v[122:123], v[98:99], v[20:21]
	s_waitcnt vmcnt(7)
	v_mul_f64 v[128:129], v[116:117], v[26:27]
	v_mul_f64 v[26:27], v[114:115], v[26:27]
	s_waitcnt vmcnt(6)
	v_mul_f64 v[126:127], v[104:105], v[30:31]
	v_mul_f64 v[30:31], v[102:103], v[30:31]
	v_fma_f64 v[98:99], v[100:101], v[20:21], -v[22:23]
	v_fmac_f64_e32 v[124:125], v[94:95], v[16:17]
	v_fma_f64 v[94:95], v[96:97], v[16:17], -v[18:19]
	v_fmac_f64_e32 v[128:129], v[114:115], v[24:25]
	v_fma_f64 v[100:101], v[116:117], v[24:25], -v[26:27]
	s_waitcnt vmcnt(4)
	v_mul_f64 v[24:25], v[108:109], v[38:39]
	s_waitcnt vmcnt(3)
	v_mul_f64 v[22:23], v[58:59], v[42:43]
	v_mul_f64 v[16:17], v[56:57], v[42:43]
	v_fmac_f64_e32 v[126:127], v[102:103], v[28:29]
	v_fma_f64 v[96:97], v[104:105], v[28:29], -v[30:31]
	v_mul_f64 v[18:19], v[106:107], v[38:39]
	v_fmac_f64_e32 v[22:23], v[56:57], v[40:41]
	v_fma_f64 v[28:29], v[58:59], v[40:41], -v[16:17]
	v_fmac_f64_e32 v[24:25], v[106:107], v[36:37]
	v_mul_f64 v[16:17], v[110:111], v[34:35]
	s_waitcnt vmcnt(2)
	v_mul_f64 v[30:31], v[88:89], v[46:47]
	s_waitcnt vmcnt(1)
	v_mul_f64 v[38:39], v[92:93], v[50:51]
	v_mul_f64 v[26:27], v[90:91], v[50:51]
	v_fma_f64 v[36:37], v[108:109], v[36:37], -v[18:19]
	v_fma_f64 v[56:57], v[112:113], v[32:33], -v[16:17]
	s_waitcnt vmcnt(0)
	v_mul_f64 v[16:17], v[118:119], v[54:55]
	v_add_f64 v[18:19], v[22:23], v[24:25]
	v_mul_f64 v[20:21], v[86:87], v[46:47]
	v_fmac_f64_e32 v[30:31], v[86:87], v[44:45]
	v_fmac_f64_e32 v[38:39], v[90:91], v[48:49]
	v_fma_f64 v[42:43], v[92:93], v[48:49], -v[26:27]
	v_mul_f64 v[58:59], v[120:121], v[54:55]
	v_fma_f64 v[54:55], v[120:121], v[52:53], -v[16:17]
	v_add_f64 v[16:17], v[60:61], v[22:23]
	v_fmac_f64_e32 v[60:61], -0.5, v[18:19]
	v_add_f64 v[18:19], v[28:29], -v[36:37]
	v_add_f64 v[26:27], v[28:29], v[36:37]
	v_mul_f64 v[130:131], v[112:113], v[34:35]
	v_fma_f64 v[40:41], v[88:89], v[44:45], -v[20:21]
	v_add_f64 v[16:17], v[16:17], v[24:25]
	v_fma_f64 v[20:21], s[2:3], v[18:19], v[60:61]
	v_fmac_f64_e32 v[60:61], s[10:11], v[18:19]
	v_add_f64 v[18:19], v[62:63], v[28:29]
	v_fmac_f64_e32 v[62:63], -0.5, v[26:27]
	v_add_f64 v[24:25], v[22:23], -v[24:25]
	v_add_f64 v[26:27], v[30:31], v[38:39]
	v_fmac_f64_e32 v[130:131], v[110:111], v[32:33]
	v_fma_f64 v[22:23], s[10:11], v[24:25], v[62:63]
	v_fmac_f64_e32 v[62:63], s[2:3], v[24:25]
	v_add_f64 v[24:25], v[12:13], v[30:31]
	v_fmac_f64_e32 v[12:13], -0.5, v[26:27]
	v_add_f64 v[26:27], v[40:41], -v[42:43]
	v_add_f64 v[32:33], v[40:41], v[42:43]
	v_fma_f64 v[28:29], s[2:3], v[26:27], v[12:13]
	v_fmac_f64_e32 v[12:13], s[10:11], v[26:27]
	v_add_f64 v[26:27], v[14:15], v[40:41]
	v_fmac_f64_e32 v[14:15], -0.5, v[32:33]
	v_add_f64 v[32:33], v[30:31], -v[38:39]
	v_add_f64 v[34:35], v[122:123], v[124:125]
	v_add_f64 v[24:25], v[24:25], v[38:39]
	v_fma_f64 v[30:31], s[10:11], v[32:33], v[14:15]
	v_fmac_f64_e32 v[14:15], s[2:3], v[32:33]
	v_add_f64 v[32:33], v[8:9], v[122:123]
	v_fmac_f64_e32 v[8:9], -0.5, v[34:35]
	v_add_f64 v[34:35], v[98:99], -v[94:95]
	v_add_f64 v[38:39], v[98:99], v[94:95]
	v_add_f64 v[18:19], v[18:19], v[36:37]
	;; [unrolled: 1-line block ×3, first 2 shown]
	v_fma_f64 v[36:37], s[2:3], v[34:35], v[8:9]
	v_fmac_f64_e32 v[8:9], s[10:11], v[34:35]
	v_add_f64 v[34:35], v[10:11], v[98:99]
	v_fmac_f64_e32 v[10:11], -0.5, v[38:39]
	v_add_f64 v[40:41], v[122:123], -v[124:125]
	v_add_f64 v[42:43], v[126:127], v[128:129]
	v_fmac_f64_e32 v[58:59], v[118:119], v[52:53]
	v_fma_f64 v[38:39], s[10:11], v[40:41], v[10:11]
	v_fmac_f64_e32 v[10:11], s[2:3], v[40:41]
	v_add_f64 v[40:41], v[4:5], v[126:127]
	v_fmac_f64_e32 v[4:5], -0.5, v[42:43]
	v_add_f64 v[42:43], v[96:97], -v[100:101]
	v_add_f64 v[46:47], v[96:97], v[100:101]
	v_fma_f64 v[44:45], s[2:3], v[42:43], v[4:5]
	v_fmac_f64_e32 v[4:5], s[10:11], v[42:43]
	v_add_f64 v[42:43], v[6:7], v[96:97]
	v_fmac_f64_e32 v[6:7], -0.5, v[46:47]
	v_add_f64 v[48:49], v[126:127], -v[128:129]
	v_add_f64 v[50:51], v[130:131], v[58:59]
	v_fma_f64 v[46:47], s[10:11], v[48:49], v[6:7]
	v_fmac_f64_e32 v[6:7], s[2:3], v[48:49]
	v_add_f64 v[48:49], v[0:1], v[130:131]
	v_fmac_f64_e32 v[0:1], -0.5, v[50:51]
	v_add_f64 v[50:51], v[56:57], -v[54:55]
	v_fma_f64 v[52:53], s[2:3], v[50:51], v[0:1]
	v_fmac_f64_e32 v[0:1], s[10:11], v[50:51]
	v_add_f64 v[50:51], v[2:3], v[56:57]
	v_add_f64 v[50:51], v[50:51], v[54:55]
	;; [unrolled: 1-line block ×3, first 2 shown]
	v_fmac_f64_e32 v[2:3], -0.5, v[54:55]
	v_add_f64 v[56:57], v[130:131], -v[58:59]
	v_fma_f64 v[54:55], s[10:11], v[56:57], v[2:3]
	v_fmac_f64_e32 v[2:3], s[2:3], v[56:57]
	v_mul_u32_u24_e32 v56, 0x420, v83
	v_lshlrev_b32_sdwa v57, v69, v135 dst_sel:DWORD dst_unused:UNUSED_PAD src0_sel:DWORD src1_sel:BYTE_0
	v_add3_u32 v56, 0, v56, v57
	ds_write_b128 v56, v[16:19]
	ds_write_b128 v56, v[20:23] offset:352
	ds_write_b128 v56, v[60:63] offset:704
	v_mul_u32_u24_e32 v16, 0x420, v136
	v_lshlrev_b32_sdwa v17, v69, v137 dst_sel:DWORD dst_unused:UNUSED_PAD src0_sel:DWORD src1_sel:BYTE_0
	v_add3_u32 v16, 0, v16, v17
	s_movk_i32 s2, 0x420
	ds_write_b128 v16, v[24:27]
	ds_write_b128 v16, v[28:31] offset:352
	ds_write_b128 v16, v[12:15] offset:704
	v_perm_b32 v12, v75, v79, s12
	v_pk_mul_lo_u16 v12, v12, s2 op_sel_hi:[1,0]
	v_lshlrev_b32_e32 v14, 4, v132
	v_and_b32_e32 v13, 0xffe0, v12
	v_add_f64 v[32:33], v[32:33], v[124:125]
	v_add_f64 v[34:35], v[34:35], v[94:95]
	v_add3_u32 v13, 0, v13, v14
	ds_write_b128 v13, v[32:35]
	ds_write_b128 v13, v[36:39] offset:352
	ds_write_b128 v13, v[8:11] offset:704
	v_lshrrev_b32_e32 v8, 16, v12
	v_lshlrev_b32_e32 v9, 4, v133
	v_add_f64 v[40:41], v[40:41], v[128:129]
	v_add_f64 v[42:43], v[42:43], v[100:101]
	v_add3_u32 v8, 0, v8, v9
	ds_write_b128 v8, v[40:43]
	ds_write_b128 v8, v[44:47] offset:352
	ds_write_b128 v8, v[4:7] offset:704
	v_mul_u32_u24_e32 v4, 0x420, v73
	v_lshlrev_b32_e32 v5, 4, v134
	v_add_f64 v[48:49], v[48:49], v[58:59]
	v_add3_u32 v4, 0, v4, v5
	s_movk_i32 s2, 0x42
	ds_write_b128 v4, v[48:51]
	ds_write_b128 v4, v[52:55] offset:352
	ds_write_b128 v4, v[0:3] offset:704
	v_add_u32_e32 v0, 0xffffffbe, v78
	v_cmp_gt_u32_e64 s[2:3], s2, v78
	v_mov_b32_e32 v29, 0
	s_waitcnt lgkmcnt(0)
	v_cndmask_b32_e64 v46, v0, v78, s[2:3]
	v_lshlrev_b32_e32 v28, 2, v46
	v_lshl_add_u64 v[0:1], v[28:29], 4, s[8:9]
	s_movk_i32 s2, 0xf9
	s_barrier
	global_load_dwordx4 v[12:15], v[0:1], off offset:880
	global_load_dwordx4 v[16:19], v[0:1], off offset:896
	;; [unrolled: 1-line block ×4, first 2 shown]
	v_mul_lo_u16_sdwa v0, v82, s2 dst_sel:DWORD dst_unused:UNUSED_PAD src0_sel:BYTE_0 src1_sel:DWORD
	v_lshrrev_b16_e32 v28, 14, v0
	v_mul_lo_u16_e32 v0, 0x42, v28
	v_sub_u16_e32 v47, v82, v0
	v_mov_b32_e32 v0, 6
	v_lshlrev_b32_sdwa v0, v0, v47 dst_sel:DWORD dst_unused:UNUSED_PAD src0_sel:DWORD src1_sel:BYTE_0
	s_mov_b32 s2, 0xf83f
	global_load_dwordx4 v[30:33], v0, s[8:9] offset:880
	global_load_dwordx4 v[34:37], v0, s[8:9] offset:896
	;; [unrolled: 1-line block ×4, first 2 shown]
	v_mul_u32_u24_sdwa v0, v74, s2 dst_sel:DWORD dst_unused:UNUSED_PAD src0_sel:WORD_0 src1_sel:DWORD
	v_lshrrev_b32_e32 v73, 22, v0
	v_mul_lo_u16_e32 v0, 0x42, v73
	v_sub_u16_e32 v75, v74, v0
	v_lshlrev_b32_e32 v0, 6, v75
	global_load_dwordx4 v[48:51], v0, s[8:9] offset:880
	global_load_dwordx4 v[52:55], v0, s[8:9] offset:896
	global_load_dwordx4 v[56:59], v0, s[8:9] offset:912
	global_load_dwordx4 v[60:63], v0, s[8:9] offset:928
	ds_read_b128 v[86:89], v85
	ds_read_b128 v[8:11], v148
	ds_read_b128 v[90:93], v148 offset:7040
	ds_read_b128 v[94:97], v148 offset:15840
	;; [unrolled: 1-line block ×3, first 2 shown]
	ds_read_b128 v[4:7], v65
	ds_read_b128 v[0:3], v67
	ds_read_b128 v[102:105], v148 offset:10560
	ds_read_b128 v[106:109], v148 offset:8800
	;; [unrolled: 1-line block ×8, first 2 shown]
	s_mov_b32 s12, 0x134454ff
	s_mov_b32 s13, 0xbfee6f0e
	;; [unrolled: 1-line block ×6, first 2 shown]
	s_movk_i32 s2, 0x41
	v_cmp_lt_u32_e64 s[2:3], s2, v78
	s_waitcnt lgkmcnt(0)
	s_barrier
	s_waitcnt vmcnt(11)
	v_mul_f64 v[134:135], v[88:89], v[14:15]
	v_mul_f64 v[14:15], v[86:87], v[14:15]
	v_fmac_f64_e32 v[134:135], v[86:87], v[12:13]
	v_fma_f64 v[86:87], v[88:89], v[12:13], -v[14:15]
	s_waitcnt vmcnt(10)
	v_mul_f64 v[88:89], v[104:105], v[18:19]
	v_mul_f64 v[12:13], v[102:103], v[18:19]
	v_fmac_f64_e32 v[88:89], v[102:103], v[16:17]
	v_fma_f64 v[102:103], v[104:105], v[16:17], -v[12:13]
	;; [unrolled: 5-line block ×3, first 2 shown]
	v_mul_f64 v[26:27], v[120:121], v[22:23]
	v_mul_f64 v[12:13], v[118:119], v[22:23]
	v_fmac_f64_e32 v[26:27], v[118:119], v[20:21]
	v_fma_f64 v[96:97], v[120:121], v[20:21], -v[12:13]
	s_waitcnt vmcnt(7)
	v_mul_f64 v[118:119], v[92:93], v[32:33]
	v_mul_f64 v[12:13], v[90:91], v[32:33]
	v_fmac_f64_e32 v[118:119], v[90:91], v[30:31]
	v_fma_f64 v[90:91], v[92:93], v[30:31], -v[12:13]
	s_waitcnt vmcnt(6)
	;; [unrolled: 5-line block ×4, first 2 shown]
	v_mul_f64 v[12:13], v[126:127], v[44:45]
	v_fma_f64 v[120:121], v[128:129], v[42:43], -v[12:13]
	s_waitcnt vmcnt(3)
	v_mul_f64 v[12:13], v[106:107], v[50:51]
	v_fma_f64 v[30:31], v[108:109], v[48:49], -v[12:13]
	s_waitcnt vmcnt(2)
	;; [unrolled: 3-line block ×4, first 2 shown]
	v_mul_f64 v[12:13], v[130:131], v[62:63]
	v_fma_f64 v[36:37], v[132:133], v[60:61], -v[12:13]
	v_add_f64 v[12:13], v[8:9], v[134:135]
	v_add_f64 v[12:13], v[12:13], v[88:89]
	;; [unrolled: 1-line block ×5, first 2 shown]
	v_fma_f64 v[12:13], -0.5, v[12:13], v[8:9]
	v_add_f64 v[14:15], v[86:87], -v[96:97]
	v_fma_f64 v[20:21], s[12:13], v[14:15], v[12:13]
	v_add_f64 v[18:19], v[102:103], -v[94:95]
	v_add_f64 v[22:23], v[134:135], -v[88:89]
	;; [unrolled: 1-line block ×3, first 2 shown]
	v_fmac_f64_e32 v[12:13], s[16:17], v[14:15]
	v_fmac_f64_e32 v[20:21], s[10:11], v[18:19]
	v_add_f64 v[22:23], v[22:23], v[24:25]
	v_fmac_f64_e32 v[12:13], s[18:19], v[18:19]
	v_fmac_f64_e32 v[20:21], s[14:15], v[22:23]
	;; [unrolled: 1-line block ×3, first 2 shown]
	v_add_f64 v[22:23], v[134:135], v[26:27]
	v_fmac_f64_e32 v[8:9], -0.5, v[22:23]
	v_fma_f64 v[24:25], s[16:17], v[18:19], v[8:9]
	v_fmac_f64_e32 v[8:9], s[12:13], v[18:19]
	v_fmac_f64_e32 v[24:25], s[10:11], v[14:15]
	;; [unrolled: 1-line block ×3, first 2 shown]
	v_add_f64 v[14:15], v[10:11], v[86:87]
	v_add_f64 v[14:15], v[14:15], v[102:103]
	v_mul_f64 v[38:39], v[108:109], v[50:51]
	v_add_f64 v[14:15], v[14:15], v[94:95]
	v_fmac_f64_e32 v[38:39], v[106:107], v[48:49]
	v_add_f64 v[22:23], v[88:89], -v[134:135]
	v_add_f64 v[48:49], v[104:105], -v[26:27]
	v_add_f64 v[18:19], v[14:15], v[96:97]
	v_add_f64 v[14:15], v[102:103], v[94:95]
	v_mul_f64 v[40:41], v[116:117], v[54:55]
	v_add_f64 v[22:23], v[22:23], v[48:49]
	v_fma_f64 v[14:15], -0.5, v[14:15], v[10:11]
	v_add_f64 v[48:49], v[134:135], -v[26:27]
	v_fmac_f64_e32 v[40:41], v[114:115], v[52:53]
	v_fmac_f64_e32 v[24:25], s[14:15], v[22:23]
	;; [unrolled: 1-line block ×3, first 2 shown]
	v_fma_f64 v[22:23], s[16:17], v[48:49], v[14:15]
	v_add_f64 v[50:51], v[88:89], -v[104:105]
	v_add_f64 v[26:27], v[86:87], -v[102:103]
	;; [unrolled: 1-line block ×3, first 2 shown]
	v_fmac_f64_e32 v[14:15], s[12:13], v[48:49]
	v_fmac_f64_e32 v[22:23], s[18:19], v[50:51]
	v_add_f64 v[26:27], v[26:27], v[52:53]
	v_fmac_f64_e32 v[14:15], s[10:11], v[50:51]
	v_fmac_f64_e32 v[22:23], s[14:15], v[26:27]
	;; [unrolled: 1-line block ×3, first 2 shown]
	v_add_f64 v[26:27], v[86:87], v[96:97]
	v_fmac_f64_e32 v[10:11], -0.5, v[26:27]
	v_fma_f64 v[26:27], s[12:13], v[50:51], v[10:11]
	v_add_f64 v[52:53], v[102:103], -v[86:87]
	v_add_f64 v[54:55], v[94:95], -v[96:97]
	v_fmac_f64_e32 v[10:11], s[16:17], v[50:51]
	v_mul_f64 v[100:101], v[128:129], v[44:45]
	v_fmac_f64_e32 v[26:27], s[18:19], v[48:49]
	v_add_f64 v[52:53], v[52:53], v[54:55]
	v_fmac_f64_e32 v[10:11], s[10:11], v[48:49]
	v_add_f64 v[50:51], v[92:93], v[112:113]
	v_fmac_f64_e32 v[100:101], v[126:127], v[42:43]
	v_mul_f64 v[42:43], v[124:125], v[58:59]
	v_mul_f64 v[44:45], v[132:133], v[62:63]
	v_fmac_f64_e32 v[26:27], s[14:15], v[52:53]
	v_fmac_f64_e32 v[10:11], s[14:15], v[52:53]
	v_fma_f64 v[52:53], -0.5, v[50:51], v[4:5]
	v_add_f64 v[50:51], v[90:91], -v[120:121]
	v_fmac_f64_e32 v[42:43], v[122:123], v[56:57]
	v_fmac_f64_e32 v[44:45], v[130:131], v[60:61]
	v_fma_f64 v[56:57], s[12:13], v[50:51], v[52:53]
	v_add_f64 v[54:55], v[110:111], -v[98:99]
	v_add_f64 v[58:59], v[118:119], -v[92:93]
	;; [unrolled: 1-line block ×3, first 2 shown]
	v_fmac_f64_e32 v[52:53], s[16:17], v[50:51]
	v_fmac_f64_e32 v[56:57], s[10:11], v[54:55]
	v_add_f64 v[58:59], v[58:59], v[60:61]
	v_fmac_f64_e32 v[52:53], s[18:19], v[54:55]
	v_fmac_f64_e32 v[56:57], s[14:15], v[58:59]
	;; [unrolled: 1-line block ×3, first 2 shown]
	v_add_f64 v[58:59], v[118:119], v[100:101]
	v_add_f64 v[48:49], v[4:5], v[118:119]
	v_fmac_f64_e32 v[4:5], -0.5, v[58:59]
	v_fma_f64 v[60:61], s[16:17], v[54:55], v[4:5]
	v_add_f64 v[58:59], v[92:93], -v[118:119]
	v_add_f64 v[62:63], v[112:113], -v[100:101]
	v_fmac_f64_e32 v[4:5], s[12:13], v[54:55]
	v_add_f64 v[54:55], v[110:111], v[98:99]
	v_fmac_f64_e32 v[60:61], s[10:11], v[50:51]
	v_add_f64 v[58:59], v[58:59], v[62:63]
	v_fmac_f64_e32 v[4:5], s[18:19], v[50:51]
	v_fma_f64 v[54:55], -0.5, v[54:55], v[6:7]
	v_add_f64 v[86:87], v[118:119], -v[100:101]
	v_add_f64 v[48:49], v[48:49], v[92:93]
	v_fmac_f64_e32 v[60:61], s[14:15], v[58:59]
	v_fmac_f64_e32 v[4:5], s[14:15], v[58:59]
	v_fma_f64 v[58:59], s[16:17], v[86:87], v[54:55]
	v_add_f64 v[88:89], v[92:93], -v[112:113]
	v_add_f64 v[62:63], v[90:91], -v[110:111]
	;; [unrolled: 1-line block ×3, first 2 shown]
	v_fmac_f64_e32 v[54:55], s[12:13], v[86:87]
	v_fmac_f64_e32 v[58:59], s[18:19], v[88:89]
	v_add_f64 v[62:63], v[62:63], v[92:93]
	v_fmac_f64_e32 v[54:55], s[10:11], v[88:89]
	v_fmac_f64_e32 v[58:59], s[14:15], v[62:63]
	;; [unrolled: 1-line block ×3, first 2 shown]
	v_add_f64 v[62:63], v[90:91], v[120:121]
	v_add_f64 v[50:51], v[6:7], v[90:91]
	v_fmac_f64_e32 v[6:7], -0.5, v[62:63]
	v_fma_f64 v[62:63], s[12:13], v[88:89], v[6:7]
	v_add_f64 v[90:91], v[110:111], -v[90:91]
	v_add_f64 v[92:93], v[98:99], -v[120:121]
	v_fmac_f64_e32 v[6:7], s[16:17], v[88:89]
	v_fmac_f64_e32 v[62:63], s[18:19], v[86:87]
	v_add_f64 v[90:91], v[90:91], v[92:93]
	v_fmac_f64_e32 v[6:7], s[10:11], v[86:87]
	v_add_f64 v[88:89], v[40:41], v[42:43]
	v_add_f64 v[50:51], v[50:51], v[110:111]
	v_fmac_f64_e32 v[62:63], s[14:15], v[90:91]
	v_fmac_f64_e32 v[6:7], s[14:15], v[90:91]
	v_fma_f64 v[90:91], -0.5, v[88:89], v[0:1]
	v_add_f64 v[88:89], v[30:31], -v[36:37]
	v_add_f64 v[50:51], v[50:51], v[98:99]
	v_fma_f64 v[94:95], s[12:13], v[88:89], v[90:91]
	v_add_f64 v[92:93], v[32:33], -v[34:35]
	v_add_f64 v[96:97], v[38:39], -v[40:41]
	;; [unrolled: 1-line block ×3, first 2 shown]
	v_fmac_f64_e32 v[90:91], s[16:17], v[88:89]
	v_fmac_f64_e32 v[94:95], s[10:11], v[92:93]
	v_add_f64 v[96:97], v[96:97], v[98:99]
	v_fmac_f64_e32 v[90:91], s[18:19], v[92:93]
	v_fmac_f64_e32 v[94:95], s[14:15], v[96:97]
	;; [unrolled: 1-line block ×3, first 2 shown]
	v_add_f64 v[96:97], v[38:39], v[44:45]
	v_add_f64 v[48:49], v[48:49], v[112:113]
	;; [unrolled: 1-line block ×3, first 2 shown]
	v_fmac_f64_e32 v[0:1], -0.5, v[96:97]
	v_add_f64 v[48:49], v[48:49], v[100:101]
	v_add_f64 v[86:87], v[86:87], v[40:41]
	v_fma_f64 v[98:99], s[16:17], v[92:93], v[0:1]
	v_add_f64 v[96:97], v[40:41], -v[38:39]
	v_add_f64 v[100:101], v[42:43], -v[44:45]
	v_fmac_f64_e32 v[0:1], s[12:13], v[92:93]
	v_add_f64 v[92:93], v[32:33], v[34:35]
	v_add_f64 v[86:87], v[86:87], v[42:43]
	v_fmac_f64_e32 v[98:99], s[10:11], v[88:89]
	v_add_f64 v[96:97], v[96:97], v[100:101]
	v_fmac_f64_e32 v[0:1], s[18:19], v[88:89]
	v_fma_f64 v[92:93], -0.5, v[92:93], v[2:3]
	v_add_f64 v[38:39], v[38:39], -v[44:45]
	v_add_f64 v[86:87], v[86:87], v[44:45]
	v_fmac_f64_e32 v[98:99], s[14:15], v[96:97]
	v_fmac_f64_e32 v[0:1], s[14:15], v[96:97]
	v_fma_f64 v[96:97], s[16:17], v[38:39], v[92:93]
	v_add_f64 v[40:41], v[40:41], -v[42:43]
	v_add_f64 v[42:43], v[30:31], -v[32:33]
	;; [unrolled: 1-line block ×3, first 2 shown]
	v_fmac_f64_e32 v[92:93], s[12:13], v[38:39]
	v_fmac_f64_e32 v[96:97], s[18:19], v[40:41]
	v_add_f64 v[42:43], v[42:43], v[44:45]
	v_fmac_f64_e32 v[92:93], s[10:11], v[40:41]
	v_fmac_f64_e32 v[96:97], s[14:15], v[42:43]
	;; [unrolled: 1-line block ×3, first 2 shown]
	v_add_f64 v[42:43], v[30:31], v[36:37]
	v_add_f64 v[88:89], v[2:3], v[30:31]
	v_fmac_f64_e32 v[2:3], -0.5, v[42:43]
	v_add_f64 v[88:89], v[88:89], v[32:33]
	v_fma_f64 v[100:101], s[12:13], v[40:41], v[2:3]
	v_add_f64 v[30:31], v[32:33], -v[30:31]
	v_add_f64 v[32:33], v[34:35], -v[36:37]
	v_fmac_f64_e32 v[2:3], s[16:17], v[40:41]
	v_fmac_f64_e32 v[100:101], s[18:19], v[38:39]
	v_add_f64 v[30:31], v[30:31], v[32:33]
	v_fmac_f64_e32 v[2:3], s[10:11], v[38:39]
	v_fmac_f64_e32 v[100:101], s[14:15], v[30:31]
	;; [unrolled: 1-line block ×3, first 2 shown]
	v_mov_b32_e32 v30, 0x14a0
	v_cndmask_b32_e64 v30, 0, v30, s[2:3]
	v_lshlrev_b32_e32 v31, 4, v46
	v_add3_u32 v30, 0, v30, v31
	ds_write_b128 v30, v[16:19]
	ds_write_b128 v30, v[20:23] offset:1056
	ds_write_b128 v30, v[24:27] offset:2112
	;; [unrolled: 1-line block ×4, first 2 shown]
	v_mul_u32_u24_e32 v8, 0x14a0, v28
	v_lshlrev_b32_sdwa v9, v69, v47 dst_sel:DWORD dst_unused:UNUSED_PAD src0_sel:DWORD src1_sel:BYTE_0
	v_add_f64 v[50:51], v[50:51], v[120:121]
	v_add3_u32 v8, 0, v8, v9
	v_add_f64 v[88:89], v[88:89], v[34:35]
	ds_write_b128 v8, v[48:51]
	ds_write_b128 v8, v[56:59] offset:1056
	ds_write_b128 v8, v[60:63] offset:2112
	;; [unrolled: 1-line block ×4, first 2 shown]
	v_mul_u32_u24_e32 v4, 0x14a0, v73
	v_lshlrev_b32_e32 v5, 4, v75
	v_add_f64 v[88:89], v[88:89], v[36:37]
	v_add3_u32 v4, 0, v4, v5
	v_lshlrev_b32_e32 v28, 2, v78
	ds_write_b128 v4, v[86:89]
	ds_write_b128 v4, v[94:97] offset:1056
	ds_write_b128 v4, v[98:101] offset:2112
	;; [unrolled: 1-line block ×4, first 2 shown]
	v_lshl_add_u64 v[0:1], v[28:29], 4, s[8:9]
	v_add_co_u32_e64 v2, s[2:3], s22, v0
	s_waitcnt lgkmcnt(0)
	s_nop 0
	v_addc_co_u32_e64 v3, s[2:3], 0, v1, s[2:3]
	s_barrier
	global_load_dwordx4 v[12:15], v[2:3], off offset:1008
	v_lshl_add_u64 v[0:1], v[0:1], 0, s[20:21]
	v_lshlrev_b32_e32 v28, 2, v82
	global_load_dwordx4 v[16:19], v[0:1], off offset:16
	global_load_dwordx4 v[20:23], v[0:1], off offset:32
	;; [unrolled: 1-line block ×3, first 2 shown]
	v_lshl_add_u64 v[0:1], v[28:29], 4, s[8:9]
	v_add_co_u32_e64 v2, s[2:3], s22, v0
	v_lshlrev_b32_e32 v28, 2, v74
	s_nop 0
	v_addc_co_u32_e64 v3, s[2:3], 0, v1, s[2:3]
	global_load_dwordx4 v[30:33], v[2:3], off offset:1008
	v_lshl_add_u64 v[0:1], v[0:1], 0, s[20:21]
	global_load_dwordx4 v[34:37], v[0:1], off offset:16
	global_load_dwordx4 v[38:41], v[0:1], off offset:32
	;; [unrolled: 1-line block ×3, first 2 shown]
	v_lshl_add_u64 v[0:1], v[28:29], 4, s[8:9]
	v_add_co_u32_e64 v2, s[2:3], s22, v0
	s_add_u32 s8, s8, 0x6670
	s_nop 0
	v_addc_co_u32_e64 v3, s[2:3], 0, v1, s[2:3]
	global_load_dwordx4 v[46:49], v[2:3], off offset:1008
	v_lshl_add_u64 v[0:1], v[0:1], 0, s[20:21]
	global_load_dwordx4 v[50:53], v[0:1], off offset:16
	global_load_dwordx4 v[54:57], v[0:1], off offset:32
	;; [unrolled: 1-line block ×3, first 2 shown]
	ds_read_b128 v[86:89], v85
	ds_read_b128 v[8:11], v148
	ds_read_b128 v[90:93], v148 offset:7040
	ds_read_b128 v[94:97], v148 offset:15840
	;; [unrolled: 1-line block ×3, first 2 shown]
	ds_read_b128 v[4:7], v65
	ds_read_b128 v[0:3], v67
	ds_read_b128 v[102:105], v148 offset:10560
	ds_read_b128 v[106:109], v148 offset:8800
	;; [unrolled: 1-line block ×8, first 2 shown]
	s_waitcnt lgkmcnt(0)
	s_barrier
	s_addc_u32 s9, s9, 0
	v_cmp_ne_u32_e64 s[2:3], 0, v78
	s_waitcnt vmcnt(11)
	v_mul_f64 v[62:63], v[88:89], v[14:15]
	v_mul_f64 v[14:15], v[86:87], v[14:15]
	v_fmac_f64_e32 v[62:63], v[86:87], v[12:13]
	v_fma_f64 v[86:87], v[88:89], v[12:13], -v[14:15]
	s_waitcnt vmcnt(10)
	v_mul_f64 v[88:89], v[104:105], v[18:19]
	v_mul_f64 v[12:13], v[102:103], v[18:19]
	v_fmac_f64_e32 v[88:89], v[102:103], v[16:17]
	v_fma_f64 v[102:103], v[104:105], v[16:17], -v[12:13]
	;; [unrolled: 5-line block ×7, first 2 shown]
	s_waitcnt vmcnt(4)
	v_mul_f64 v[12:13], v[126:127], v[44:45]
	v_fma_f64 v[120:121], v[128:129], v[42:43], -v[12:13]
	s_waitcnt vmcnt(3)
	v_mul_f64 v[12:13], v[106:107], v[48:49]
	v_fma_f64 v[30:31], v[108:109], v[46:47], -v[12:13]
	;; [unrolled: 3-line block ×5, first 2 shown]
	v_add_f64 v[12:13], v[8:9], v[62:63]
	v_add_f64 v[12:13], v[12:13], v[88:89]
	;; [unrolled: 1-line block ×5, first 2 shown]
	v_fma_f64 v[12:13], -0.5, v[12:13], v[8:9]
	v_add_f64 v[14:15], v[86:87], -v[96:97]
	v_fma_f64 v[20:21], s[12:13], v[14:15], v[12:13]
	v_add_f64 v[18:19], v[102:103], -v[94:95]
	v_add_f64 v[24:25], v[62:63], -v[88:89]
	;; [unrolled: 1-line block ×3, first 2 shown]
	v_fmac_f64_e32 v[12:13], s[16:17], v[14:15]
	v_fmac_f64_e32 v[20:21], s[10:11], v[18:19]
	v_add_f64 v[24:25], v[24:25], v[26:27]
	v_fmac_f64_e32 v[12:13], s[18:19], v[18:19]
	v_fmac_f64_e32 v[20:21], s[14:15], v[24:25]
	;; [unrolled: 1-line block ×3, first 2 shown]
	v_add_f64 v[24:25], v[62:63], v[22:23]
	v_fmac_f64_e32 v[8:9], -0.5, v[24:25]
	v_fma_f64 v[24:25], s[16:17], v[18:19], v[8:9]
	v_fmac_f64_e32 v[8:9], s[12:13], v[18:19]
	v_fmac_f64_e32 v[24:25], s[10:11], v[14:15]
	;; [unrolled: 1-line block ×3, first 2 shown]
	v_add_f64 v[14:15], v[10:11], v[86:87]
	v_add_f64 v[14:15], v[14:15], v[102:103]
	v_mul_f64 v[38:39], v[108:109], v[48:49]
	v_add_f64 v[14:15], v[14:15], v[94:95]
	v_fmac_f64_e32 v[38:39], v[106:107], v[46:47]
	v_add_f64 v[26:27], v[88:89], -v[62:63]
	v_add_f64 v[46:47], v[104:105], -v[22:23]
	v_add_f64 v[18:19], v[14:15], v[96:97]
	v_add_f64 v[14:15], v[102:103], v[94:95]
	v_mul_f64 v[40:41], v[116:117], v[52:53]
	v_add_f64 v[26:27], v[26:27], v[46:47]
	v_fma_f64 v[14:15], -0.5, v[14:15], v[10:11]
	v_add_f64 v[46:47], v[62:63], -v[22:23]
	v_fmac_f64_e32 v[40:41], v[114:115], v[50:51]
	v_fmac_f64_e32 v[24:25], s[14:15], v[26:27]
	v_fmac_f64_e32 v[8:9], s[14:15], v[26:27]
	v_fma_f64 v[22:23], s[16:17], v[46:47], v[14:15]
	v_add_f64 v[48:49], v[88:89], -v[104:105]
	v_add_f64 v[26:27], v[86:87], -v[102:103]
	;; [unrolled: 1-line block ×3, first 2 shown]
	v_fmac_f64_e32 v[14:15], s[12:13], v[46:47]
	v_fmac_f64_e32 v[22:23], s[18:19], v[48:49]
	v_add_f64 v[26:27], v[26:27], v[50:51]
	v_fmac_f64_e32 v[14:15], s[10:11], v[48:49]
	v_fmac_f64_e32 v[22:23], s[14:15], v[26:27]
	;; [unrolled: 1-line block ×3, first 2 shown]
	v_add_f64 v[26:27], v[86:87], v[96:97]
	v_fmac_f64_e32 v[10:11], -0.5, v[26:27]
	v_fma_f64 v[26:27], s[12:13], v[48:49], v[10:11]
	v_add_f64 v[50:51], v[102:103], -v[86:87]
	v_add_f64 v[52:53], v[94:95], -v[96:97]
	v_fmac_f64_e32 v[10:11], s[16:17], v[48:49]
	v_mul_f64 v[100:101], v[128:129], v[44:45]
	v_fmac_f64_e32 v[26:27], s[18:19], v[46:47]
	v_add_f64 v[50:51], v[50:51], v[52:53]
	v_fmac_f64_e32 v[10:11], s[10:11], v[46:47]
	v_add_f64 v[48:49], v[92:93], v[112:113]
	v_fmac_f64_e32 v[100:101], v[126:127], v[42:43]
	v_mul_f64 v[42:43], v[124:125], v[56:57]
	v_mul_f64 v[44:45], v[132:133], v[60:61]
	v_fmac_f64_e32 v[26:27], s[14:15], v[50:51]
	v_fmac_f64_e32 v[10:11], s[14:15], v[50:51]
	v_fma_f64 v[50:51], -0.5, v[48:49], v[4:5]
	v_add_f64 v[48:49], v[90:91], -v[120:121]
	v_fmac_f64_e32 v[42:43], v[122:123], v[54:55]
	v_fmac_f64_e32 v[44:45], v[130:131], v[58:59]
	v_fma_f64 v[54:55], s[12:13], v[48:49], v[50:51]
	v_add_f64 v[52:53], v[110:111], -v[98:99]
	v_add_f64 v[56:57], v[118:119], -v[92:93]
	;; [unrolled: 1-line block ×3, first 2 shown]
	v_fmac_f64_e32 v[50:51], s[16:17], v[48:49]
	v_fmac_f64_e32 v[54:55], s[10:11], v[52:53]
	v_add_f64 v[56:57], v[56:57], v[58:59]
	v_fmac_f64_e32 v[50:51], s[18:19], v[52:53]
	v_fmac_f64_e32 v[54:55], s[14:15], v[56:57]
	;; [unrolled: 1-line block ×3, first 2 shown]
	v_add_f64 v[56:57], v[118:119], v[100:101]
	v_add_f64 v[46:47], v[4:5], v[118:119]
	v_fmac_f64_e32 v[4:5], -0.5, v[56:57]
	v_fma_f64 v[58:59], s[16:17], v[52:53], v[4:5]
	v_add_f64 v[56:57], v[92:93], -v[118:119]
	v_add_f64 v[60:61], v[112:113], -v[100:101]
	v_fmac_f64_e32 v[4:5], s[12:13], v[52:53]
	v_add_f64 v[52:53], v[110:111], v[98:99]
	v_fmac_f64_e32 v[58:59], s[10:11], v[48:49]
	v_add_f64 v[56:57], v[56:57], v[60:61]
	v_fmac_f64_e32 v[4:5], s[18:19], v[48:49]
	v_fma_f64 v[52:53], -0.5, v[52:53], v[6:7]
	v_add_f64 v[62:63], v[118:119], -v[100:101]
	v_fmac_f64_e32 v[58:59], s[14:15], v[56:57]
	v_fmac_f64_e32 v[4:5], s[14:15], v[56:57]
	v_fma_f64 v[56:57], s[16:17], v[62:63], v[52:53]
	v_add_f64 v[86:87], v[92:93], -v[112:113]
	v_add_f64 v[60:61], v[90:91], -v[110:111]
	;; [unrolled: 1-line block ×3, first 2 shown]
	v_fmac_f64_e32 v[52:53], s[12:13], v[62:63]
	v_fmac_f64_e32 v[56:57], s[18:19], v[86:87]
	v_add_f64 v[60:61], v[60:61], v[88:89]
	v_fmac_f64_e32 v[52:53], s[10:11], v[86:87]
	v_fmac_f64_e32 v[56:57], s[14:15], v[60:61]
	;; [unrolled: 1-line block ×3, first 2 shown]
	v_add_f64 v[60:61], v[90:91], v[120:121]
	v_add_f64 v[48:49], v[6:7], v[90:91]
	v_fmac_f64_e32 v[6:7], -0.5, v[60:61]
	v_fma_f64 v[60:61], s[12:13], v[86:87], v[6:7]
	v_fmac_f64_e32 v[6:7], s[16:17], v[86:87]
	v_fmac_f64_e32 v[60:61], s[18:19], v[62:63]
	;; [unrolled: 1-line block ×3, first 2 shown]
	v_add_f64 v[62:63], v[0:1], v[38:39]
	v_add_f64 v[62:63], v[62:63], v[40:41]
	;; [unrolled: 1-line block ×3, first 2 shown]
	v_add_f64 v[88:89], v[110:111], -v[90:91]
	v_add_f64 v[90:91], v[98:99], -v[120:121]
	v_add_f64 v[86:87], v[62:63], v[44:45]
	v_add_f64 v[62:63], v[40:41], v[42:43]
	;; [unrolled: 1-line block ×3, first 2 shown]
	v_fma_f64 v[90:91], -0.5, v[62:63], v[0:1]
	v_add_f64 v[62:63], v[30:31], -v[36:37]
	v_add_f64 v[46:47], v[46:47], v[92:93]
	v_fmac_f64_e32 v[60:61], s[14:15], v[88:89]
	v_fmac_f64_e32 v[6:7], s[14:15], v[88:89]
	v_fma_f64 v[94:95], s[12:13], v[62:63], v[90:91]
	v_add_f64 v[88:89], v[32:33], -v[34:35]
	v_add_f64 v[92:93], v[38:39], -v[40:41]
	;; [unrolled: 1-line block ×3, first 2 shown]
	v_fmac_f64_e32 v[90:91], s[16:17], v[62:63]
	v_fmac_f64_e32 v[94:95], s[10:11], v[88:89]
	v_add_f64 v[92:93], v[92:93], v[96:97]
	v_fmac_f64_e32 v[90:91], s[18:19], v[88:89]
	v_fmac_f64_e32 v[94:95], s[14:15], v[92:93]
	;; [unrolled: 1-line block ×3, first 2 shown]
	v_add_f64 v[92:93], v[38:39], v[44:45]
	v_add_f64 v[48:49], v[48:49], v[110:111]
	v_fmac_f64_e32 v[0:1], -0.5, v[92:93]
	v_add_f64 v[48:49], v[48:49], v[98:99]
	v_fma_f64 v[98:99], s[16:17], v[88:89], v[0:1]
	v_fmac_f64_e32 v[0:1], s[12:13], v[88:89]
	v_fmac_f64_e32 v[98:99], s[10:11], v[62:63]
	;; [unrolled: 1-line block ×3, first 2 shown]
	v_add_f64 v[62:63], v[2:3], v[30:31]
	v_add_f64 v[62:63], v[62:63], v[32:33]
	v_add_f64 v[92:93], v[40:41], -v[38:39]
	v_add_f64 v[96:97], v[42:43], -v[44:45]
	v_add_f64 v[62:63], v[62:63], v[34:35]
	v_add_f64 v[92:93], v[92:93], v[96:97]
	;; [unrolled: 1-line block ×4, first 2 shown]
	v_fmac_f64_e32 v[98:99], s[14:15], v[92:93]
	v_fmac_f64_e32 v[0:1], s[14:15], v[92:93]
	v_fma_f64 v[92:93], -0.5, v[62:63], v[2:3]
	v_add_f64 v[38:39], v[38:39], -v[44:45]
	v_fma_f64 v[96:97], s[16:17], v[38:39], v[92:93]
	v_add_f64 v[40:41], v[40:41], -v[42:43]
	v_add_f64 v[42:43], v[30:31], -v[32:33]
	;; [unrolled: 1-line block ×3, first 2 shown]
	v_fmac_f64_e32 v[92:93], s[12:13], v[38:39]
	v_fmac_f64_e32 v[96:97], s[18:19], v[40:41]
	v_add_f64 v[42:43], v[42:43], v[44:45]
	v_fmac_f64_e32 v[92:93], s[10:11], v[40:41]
	v_fmac_f64_e32 v[96:97], s[14:15], v[42:43]
	;; [unrolled: 1-line block ×3, first 2 shown]
	v_add_f64 v[42:43], v[30:31], v[36:37]
	v_add_f64 v[46:47], v[46:47], v[112:113]
	v_fmac_f64_e32 v[2:3], -0.5, v[42:43]
	v_add_f64 v[46:47], v[46:47], v[100:101]
	v_fma_f64 v[100:101], s[12:13], v[40:41], v[2:3]
	v_add_f64 v[30:31], v[32:33], -v[30:31]
	v_add_f64 v[32:33], v[34:35], -v[36:37]
	v_fmac_f64_e32 v[2:3], s[16:17], v[40:41]
	v_add_f64 v[30:31], v[30:31], v[32:33]
	v_fmac_f64_e32 v[2:3], s[10:11], v[38:39]
	v_fmac_f64_e32 v[100:101], s[18:19], v[38:39]
	;; [unrolled: 1-line block ×3, first 2 shown]
	v_add_f64 v[48:49], v[48:49], v[120:121]
	v_fmac_f64_e32 v[100:101], s[14:15], v[30:31]
	ds_write_b128 v148, v[16:19]
	ds_write_b128 v148, v[20:23] offset:5280
	ds_write_b128 v148, v[24:27] offset:10560
	ds_write_b128 v148, v[8:11] offset:15840
	ds_write_b128 v148, v[12:15] offset:21120
	ds_write_b128 v65, v[46:49]
	ds_write_b128 v65, v[54:57] offset:5280
	ds_write_b128 v65, v[58:61] offset:10560
	ds_write_b128 v65, v[4:7] offset:15840
	ds_write_b128 v65, v[50:53] offset:21120
	;; [unrolled: 5-line block ×3, first 2 shown]
	s_waitcnt lgkmcnt(0)
	s_barrier
	ds_read_b128 v[0:3], v148
	v_lshlrev_b32_e32 v4, 4, v78
	v_sub_u32_e32 v10, 0, v4
                                        ; implicit-def: $vgpr6_vgpr7
                                        ; implicit-def: $vgpr8_vgpr9
	s_and_saveexec_b64 s[10:11], s[2:3]
	s_xor_b64 s[2:3], exec, s[10:11]
	s_cbranch_execz .LBB0_21
; %bb.20:
	v_mov_b32_e32 v79, v29
	v_lshl_add_u64 v[4:5], v[78:79], 4, s[8:9]
	global_load_dwordx4 v[6:9], v[4:5], off
	ds_read_b128 v[12:15], v10 offset:26400
	s_waitcnt lgkmcnt(0)
	v_add_f64 v[4:5], v[0:1], v[12:13]
	v_add_f64 v[0:1], v[0:1], -v[12:13]
	v_mul_f64 v[0:1], v[0:1], 0.5
	v_add_f64 v[16:17], v[2:3], v[14:15]
	v_add_f64 v[2:3], v[2:3], -v[14:15]
	v_mul_f64 v[12:13], v[16:17], 0.5
	v_mul_f64 v[2:3], v[2:3], 0.5
	s_waitcnt vmcnt(0)
	v_mul_f64 v[14:15], v[0:1], v[8:9]
	v_fma_f64 v[18:19], 0.5, v[4:5], v[14:15]
	v_fma_f64 v[16:17], v[12:13], v[8:9], v[2:3]
	v_fma_f64 v[2:3], v[12:13], v[8:9], -v[2:3]
	v_fma_f64 v[4:5], v[4:5], 0.5, -v[14:15]
	v_fmac_f64_e32 v[18:19], v[12:13], v[6:7]
	v_fma_f64 v[8:9], -v[6:7], v[0:1], v[16:17]
	v_fma_f64 v[4:5], -v[12:13], v[6:7], v[4:5]
	ds_write_b64 v148, v[18:19]
	v_fma_f64 v[6:7], -v[6:7], v[0:1], v[2:3]
                                        ; implicit-def: $vgpr0_vgpr1
.LBB0_21:
	s_andn2_saveexec_b64 s[2:3], s[2:3]
	s_cbranch_execz .LBB0_23
; %bb.22:
	v_mov_b32_e32 v11, 0
	ds_read_b64 v[6:7], v11 offset:13208
	v_mov_b64_e32 v[8:9], 0
	s_waitcnt lgkmcnt(1)
	v_add_f64 v[12:13], v[0:1], v[2:3]
	v_add_f64 v[4:5], v[0:1], -v[2:3]
	ds_write_b64 v148, v[12:13]
	s_waitcnt lgkmcnt(1)
	v_xor_b32_e32 v7, 0x80000000, v7
	ds_write_b64 v11, v[6:7] offset:13208
	v_mov_b64_e32 v[6:7], v[8:9]
.LBB0_23:
	s_or_b64 exec, exec, s[2:3]
	v_mov_b32_e32 v83, 0
	s_waitcnt lgkmcnt(0)
	v_lshl_add_u64 v[0:1], v[82:83], 4, s[8:9]
	global_load_dwordx4 v[12:15], v[0:1], off
	v_mov_b32_e32 v75, v83
	v_lshl_add_u64 v[0:1], v[74:75], 4, s[8:9]
	global_load_dwordx4 v[16:19], v[0:1], off
	v_mov_b32_e32 v73, v83
	v_lshl_add_u64 v[0:1], v[72:73], 4, s[8:9]
	global_load_dwordx4 v[0:3], v[0:1], off
	ds_write_b64 v148, v[8:9] offset:8
	ds_write_b128 v10, v[4:7] offset:26400
	v_mov_b32_e32 v69, v83
	ds_read_b128 v[4:7], v65
	ds_read_b128 v[20:23], v10 offset:24640
	v_lshl_add_u64 v[8:9], v[68:69], 4, s[8:9]
	global_load_dwordx4 v[24:27], v[8:9], off
	s_waitcnt lgkmcnt(0)
	v_add_f64 v[8:9], v[4:5], v[20:21]
	v_add_f64 v[4:5], v[4:5], -v[20:21]
	v_add_f64 v[28:29], v[6:7], v[22:23]
	v_add_f64 v[6:7], v[6:7], -v[22:23]
	v_mul_f64 v[22:23], v[4:5], 0.5
	v_mul_f64 v[20:21], v[28:29], 0.5
	;; [unrolled: 1-line block ×3, first 2 shown]
	s_waitcnt vmcnt(3)
	v_mul_f64 v[28:29], v[22:23], v[14:15]
	v_fma_f64 v[6:7], v[20:21], v[14:15], v[4:5]
	v_fma_f64 v[14:15], v[20:21], v[14:15], -v[4:5]
	v_fma_f64 v[4:5], 0.5, v[8:9], v[28:29]
	v_fma_f64 v[6:7], -v[12:13], v[22:23], v[6:7]
	v_fma_f64 v[8:9], v[8:9], 0.5, -v[28:29]
	v_fmac_f64_e32 v[4:5], v[20:21], v[12:13]
	v_fma_f64 v[14:15], -v[12:13], v[22:23], v[14:15]
	v_fma_f64 v[12:13], -v[20:21], v[12:13], v[8:9]
	ds_write_b128 v65, v[4:7]
	ds_write_b128 v10, v[12:15] offset:24640
	v_mov_b32_e32 v65, v83
	ds_read_b128 v[4:7], v67
	ds_read_b128 v[12:15], v10 offset:22880
	v_lshl_add_u64 v[8:9], v[64:65], 4, s[8:9]
	global_load_dwordx4 v[20:23], v[8:9], off
	s_waitcnt lgkmcnt(0)
	v_add_f64 v[8:9], v[4:5], v[12:13]
	v_add_f64 v[4:5], v[4:5], -v[12:13]
	v_add_f64 v[28:29], v[6:7], v[14:15]
	v_add_f64 v[6:7], v[6:7], -v[14:15]
	v_mul_f64 v[14:15], v[4:5], 0.5
	v_mul_f64 v[12:13], v[28:29], 0.5
	;; [unrolled: 1-line block ×3, first 2 shown]
	s_waitcnt vmcnt(3)
	v_mul_f64 v[28:29], v[14:15], v[18:19]
	v_fma_f64 v[6:7], v[12:13], v[18:19], v[4:5]
	v_fma_f64 v[18:19], v[12:13], v[18:19], -v[4:5]
	v_fma_f64 v[4:5], 0.5, v[8:9], v[28:29]
	v_fma_f64 v[6:7], -v[16:17], v[14:15], v[6:7]
	v_fma_f64 v[8:9], v[8:9], 0.5, -v[28:29]
	v_fmac_f64_e32 v[4:5], v[12:13], v[16:17]
	v_fma_f64 v[14:15], -v[16:17], v[14:15], v[18:19]
	v_fma_f64 v[12:13], -v[12:13], v[16:17], v[8:9]
	ds_write_b128 v67, v[4:7]
	ds_write_b128 v10, v[12:15] offset:22880
	v_mov_b32_e32 v67, v83
	v_lshl_add_u64 v[8:9], v[66:67], 4, s[8:9]
	ds_read_b128 v[4:7], v85
	ds_read_b128 v[12:15], v10 offset:21120
	global_load_dwordx4 v[16:19], v[8:9], off
	s_waitcnt lgkmcnt(0)
	v_add_f64 v[8:9], v[4:5], v[12:13]
	v_add_f64 v[4:5], v[4:5], -v[12:13]
	v_add_f64 v[28:29], v[6:7], v[14:15]
	v_add_f64 v[6:7], v[6:7], -v[14:15]
	v_mul_f64 v[14:15], v[4:5], 0.5
	v_mul_f64 v[12:13], v[28:29], 0.5
	;; [unrolled: 1-line block ×3, first 2 shown]
	s_waitcnt vmcnt(3)
	v_mul_f64 v[6:7], v[14:15], v[2:3]
	v_fma_f64 v[28:29], v[12:13], v[2:3], v[4:5]
	v_fma_f64 v[30:31], v[12:13], v[2:3], -v[4:5]
	v_fma_f64 v[2:3], 0.5, v[8:9], v[6:7]
	v_fma_f64 v[4:5], -v[0:1], v[14:15], v[28:29]
	v_fma_f64 v[6:7], v[8:9], 0.5, -v[6:7]
	v_fmac_f64_e32 v[2:3], v[12:13], v[0:1]
	v_fma_f64 v[8:9], -v[0:1], v[14:15], v[30:31]
	v_fma_f64 v[6:7], -v[12:13], v[0:1], v[6:7]
	ds_write_b128 v85, v[2:5]
	ds_write_b128 v10, v[6:9] offset:21120
	ds_read_b128 v[0:3], v84
	ds_read_b128 v[4:7], v10 offset:19360
	s_waitcnt lgkmcnt(0)
	v_add_f64 v[8:9], v[0:1], v[4:5]
	v_add_f64 v[0:1], v[0:1], -v[4:5]
	v_add_f64 v[12:13], v[2:3], v[6:7]
	v_add_f64 v[2:3], v[2:3], -v[6:7]
	v_mul_f64 v[6:7], v[0:1], 0.5
	v_mul_f64 v[4:5], v[12:13], 0.5
	;; [unrolled: 1-line block ×3, first 2 shown]
	s_waitcnt vmcnt(2)
	v_mul_f64 v[12:13], v[6:7], v[26:27]
	v_fma_f64 v[2:3], v[4:5], v[26:27], v[0:1]
	v_fma_f64 v[14:15], v[4:5], v[26:27], -v[0:1]
	v_fma_f64 v[0:1], 0.5, v[8:9], v[12:13]
	v_fma_f64 v[2:3], -v[24:25], v[6:7], v[2:3]
	v_fma_f64 v[8:9], v[8:9], 0.5, -v[12:13]
	v_fmac_f64_e32 v[0:1], v[4:5], v[24:25]
	v_fma_f64 v[6:7], -v[24:25], v[6:7], v[14:15]
	v_fma_f64 v[4:5], -v[4:5], v[24:25], v[8:9]
	ds_write_b128 v84, v[0:3]
	ds_write_b128 v10, v[4:7] offset:19360
	ds_read_b128 v[0:3], v71
	ds_read_b128 v[4:7], v10 offset:17600
	s_waitcnt lgkmcnt(0)
	v_add_f64 v[8:9], v[0:1], v[4:5]
	v_add_f64 v[0:1], v[0:1], -v[4:5]
	v_add_f64 v[12:13], v[2:3], v[6:7]
	v_add_f64 v[2:3], v[2:3], -v[6:7]
	v_mul_f64 v[6:7], v[0:1], 0.5
	v_mul_f64 v[4:5], v[12:13], 0.5
	;; [unrolled: 1-line block ×3, first 2 shown]
	s_waitcnt vmcnt(1)
	v_mul_f64 v[12:13], v[6:7], v[22:23]
	v_fma_f64 v[2:3], v[4:5], v[22:23], v[0:1]
	v_fma_f64 v[14:15], v[4:5], v[22:23], -v[0:1]
	v_fma_f64 v[0:1], 0.5, v[8:9], v[12:13]
	v_fma_f64 v[2:3], -v[20:21], v[6:7], v[2:3]
	v_fma_f64 v[8:9], v[8:9], 0.5, -v[12:13]
	v_fmac_f64_e32 v[0:1], v[4:5], v[20:21]
	v_fma_f64 v[6:7], -v[20:21], v[6:7], v[14:15]
	v_fma_f64 v[4:5], -v[4:5], v[20:21], v[8:9]
	ds_write_b128 v71, v[0:3]
	ds_write_b128 v10, v[4:7] offset:17600
	ds_read_b128 v[0:3], v148 offset:10560
	ds_read_b128 v[4:7], v10 offset:15840
	s_waitcnt lgkmcnt(0)
	v_add_f64 v[8:9], v[0:1], v[4:5]
	v_add_f64 v[0:1], v[0:1], -v[4:5]
	v_add_f64 v[12:13], v[2:3], v[6:7]
	v_add_f64 v[2:3], v[2:3], -v[6:7]
	v_mul_f64 v[6:7], v[0:1], 0.5
	v_mul_f64 v[4:5], v[12:13], 0.5
	;; [unrolled: 1-line block ×3, first 2 shown]
	s_waitcnt vmcnt(0)
	v_mul_f64 v[12:13], v[6:7], v[18:19]
	v_fma_f64 v[2:3], v[4:5], v[18:19], v[0:1]
	v_fma_f64 v[14:15], v[4:5], v[18:19], -v[0:1]
	v_fma_f64 v[0:1], 0.5, v[8:9], v[12:13]
	v_fma_f64 v[2:3], -v[16:17], v[6:7], v[2:3]
	v_fma_f64 v[8:9], v[8:9], 0.5, -v[12:13]
	v_fmac_f64_e32 v[0:1], v[4:5], v[16:17]
	v_fma_f64 v[6:7], -v[16:17], v[6:7], v[14:15]
	v_fma_f64 v[4:5], -v[4:5], v[16:17], v[8:9]
	ds_write_b128 v148, v[0:3] offset:10560
	ds_write_b128 v10, v[4:7] offset:15840
	s_and_saveexec_b64 s[2:3], vcc
	s_cbranch_execz .LBB0_25
; %bb.24:
	v_mov_b32_e32 v71, v83
	v_lshl_add_u64 v[0:1], v[70:71], 4, s[8:9]
	global_load_dwordx4 v[0:3], v[0:1], off
	ds_read_b128 v[4:7], v148 offset:12320
	ds_read_b128 v[12:15], v10 offset:14080
	s_waitcnt lgkmcnt(0)
	v_add_f64 v[8:9], v[4:5], v[12:13]
	v_add_f64 v[4:5], v[4:5], -v[12:13]
	v_add_f64 v[16:17], v[6:7], v[14:15]
	v_add_f64 v[6:7], v[6:7], -v[14:15]
	v_mul_f64 v[14:15], v[4:5], 0.5
	v_mul_f64 v[12:13], v[16:17], 0.5
	;; [unrolled: 1-line block ×3, first 2 shown]
	s_waitcnt vmcnt(0)
	v_mul_f64 v[6:7], v[14:15], v[2:3]
	v_fma_f64 v[16:17], v[12:13], v[2:3], v[4:5]
	v_fma_f64 v[18:19], v[12:13], v[2:3], -v[4:5]
	v_fma_f64 v[2:3], 0.5, v[8:9], v[6:7]
	v_fma_f64 v[4:5], -v[0:1], v[14:15], v[16:17]
	v_fma_f64 v[6:7], v[8:9], 0.5, -v[6:7]
	v_fmac_f64_e32 v[2:3], v[12:13], v[0:1]
	v_fma_f64 v[8:9], -v[0:1], v[14:15], v[18:19]
	v_fma_f64 v[6:7], -v[12:13], v[0:1], v[6:7]
	ds_write_b128 v148, v[2:5] offset:12320
	ds_write_b128 v10, v[6:9] offset:14080
.LBB0_25:
	s_or_b64 exec, exec, s[2:3]
	s_waitcnt lgkmcnt(0)
	s_barrier
	s_and_saveexec_b64 s[2:3], s[0:1]
	s_cbranch_execz .LBB0_28
; %bb.26:
	v_mul_lo_u32 v2, s5, v80
	v_mul_lo_u32 v3, s4, v81
	v_mad_u64_u32 v[0:1], s[0:1], s4, v80, 0
	v_lshl_add_u32 v12, v78, 4, 0
	v_add3_u32 v1, v1, v3, v2
	ds_read_b128 v[2:5], v12
	ds_read_b128 v[6:9], v12 offset:1760
	v_lshl_add_u64 v[0:1], v[0:1], 4, s[6:7]
	v_mov_b32_e32 v79, 0
	v_lshl_add_u64 v[0:1], v[76:77], 4, v[0:1]
	v_lshl_add_u64 v[10:11], v[78:79], 4, v[0:1]
	s_waitcnt lgkmcnt(1)
	global_store_dwordx4 v[10:11], v[2:5], off
	s_movk_i32 s0, 0x6d
	v_cmp_eq_u32_e32 vcc, s0, v78
	v_add_u32_e32 v2, 0x6e, v78
	v_mov_b32_e32 v3, v79
	v_lshl_add_u64 v[2:3], v[2:3], 4, v[0:1]
	s_waitcnt lgkmcnt(0)
	global_store_dwordx4 v[2:3], v[6:9], off
	ds_read_b128 v[2:5], v12 offset:3520
	s_nop 0
	v_add_u32_e32 v6, 0xdc, v78
	v_mov_b32_e32 v7, v79
	v_lshl_add_u64 v[10:11], v[6:7], 4, v[0:1]
	ds_read_b128 v[6:9], v12 offset:5280
	s_waitcnt lgkmcnt(1)
	global_store_dwordx4 v[10:11], v[2:5], off
	s_nop 1
	v_add_u32_e32 v2, 0x14a, v78
	v_mov_b32_e32 v3, v79
	v_lshl_add_u64 v[2:3], v[2:3], 4, v[0:1]
	s_waitcnt lgkmcnt(0)
	global_store_dwordx4 v[2:3], v[6:9], off
	ds_read_b128 v[2:5], v12 offset:7040
	s_nop 0
	v_add_u32_e32 v6, 0x1b8, v78
	v_mov_b32_e32 v7, v79
	v_lshl_add_u64 v[10:11], v[6:7], 4, v[0:1]
	ds_read_b128 v[6:9], v12 offset:8800
	s_waitcnt lgkmcnt(1)
	global_store_dwordx4 v[10:11], v[2:5], off
	s_nop 1
	;; [unrolled: 14-line block ×6, first 2 shown]
	v_add_u32_e32 v2, 0x596, v78
	v_mov_b32_e32 v3, v79
	v_lshl_add_u64 v[10:11], v[2:3], 4, v[0:1]
	ds_read_b128 v[2:5], v12 offset:24640
	s_waitcnt lgkmcnt(1)
	global_store_dwordx4 v[10:11], v[6:9], off
	s_nop 1
	v_add_u32_e32 v6, 0x604, v78
	v_mov_b32_e32 v7, v79
	v_lshl_add_u64 v[6:7], v[6:7], 4, v[0:1]
	s_waitcnt lgkmcnt(0)
	global_store_dwordx4 v[6:7], v[2:5], off
	s_and_b64 exec, exec, vcc
	s_cbranch_execz .LBB0_28
; %bb.27:
	ds_read_b128 v[2:5], v79 offset:26400
	v_add_co_u32_e32 v0, vcc, 0x6000, v0
	s_nop 1
	v_addc_co_u32_e32 v1, vcc, 0, v1, vcc
	s_waitcnt lgkmcnt(0)
	global_store_dwordx4 v[0:1], v[2:5], off offset:1824
.LBB0_28:
	s_endpgm
	.section	.rodata,"a",@progbits
	.p2align	6, 0x0
	.amdhsa_kernel fft_rtc_back_len1650_factors_11_2_3_5_5_wgs_110_tpt_110_halfLds_dp_op_CI_CI_unitstride_sbrr_R2C_dirReg
		.amdhsa_group_segment_fixed_size 0
		.amdhsa_private_segment_fixed_size 0
		.amdhsa_kernarg_size 104
		.amdhsa_user_sgpr_count 2
		.amdhsa_user_sgpr_dispatch_ptr 0
		.amdhsa_user_sgpr_queue_ptr 0
		.amdhsa_user_sgpr_kernarg_segment_ptr 1
		.amdhsa_user_sgpr_dispatch_id 0
		.amdhsa_user_sgpr_kernarg_preload_length 0
		.amdhsa_user_sgpr_kernarg_preload_offset 0
		.amdhsa_user_sgpr_private_segment_size 0
		.amdhsa_uses_dynamic_stack 0
		.amdhsa_enable_private_segment 0
		.amdhsa_system_sgpr_workgroup_id_x 1
		.amdhsa_system_sgpr_workgroup_id_y 0
		.amdhsa_system_sgpr_workgroup_id_z 0
		.amdhsa_system_sgpr_workgroup_info 0
		.amdhsa_system_vgpr_workitem_id 0
		.amdhsa_next_free_vgpr 168
		.amdhsa_next_free_sgpr 40
		.amdhsa_accum_offset 168
		.amdhsa_reserve_vcc 1
		.amdhsa_float_round_mode_32 0
		.amdhsa_float_round_mode_16_64 0
		.amdhsa_float_denorm_mode_32 3
		.amdhsa_float_denorm_mode_16_64 3
		.amdhsa_dx10_clamp 1
		.amdhsa_ieee_mode 1
		.amdhsa_fp16_overflow 0
		.amdhsa_tg_split 0
		.amdhsa_exception_fp_ieee_invalid_op 0
		.amdhsa_exception_fp_denorm_src 0
		.amdhsa_exception_fp_ieee_div_zero 0
		.amdhsa_exception_fp_ieee_overflow 0
		.amdhsa_exception_fp_ieee_underflow 0
		.amdhsa_exception_fp_ieee_inexact 0
		.amdhsa_exception_int_div_zero 0
	.end_amdhsa_kernel
	.text
.Lfunc_end0:
	.size	fft_rtc_back_len1650_factors_11_2_3_5_5_wgs_110_tpt_110_halfLds_dp_op_CI_CI_unitstride_sbrr_R2C_dirReg, .Lfunc_end0-fft_rtc_back_len1650_factors_11_2_3_5_5_wgs_110_tpt_110_halfLds_dp_op_CI_CI_unitstride_sbrr_R2C_dirReg
                                        ; -- End function
	.section	.AMDGPU.csdata,"",@progbits
; Kernel info:
; codeLenInByte = 16312
; NumSgprs: 46
; NumVgprs: 168
; NumAgprs: 0
; TotalNumVgprs: 168
; ScratchSize: 0
; MemoryBound: 0
; FloatMode: 240
; IeeeMode: 1
; LDSByteSize: 0 bytes/workgroup (compile time only)
; SGPRBlocks: 5
; VGPRBlocks: 20
; NumSGPRsForWavesPerEU: 46
; NumVGPRsForWavesPerEU: 168
; AccumOffset: 168
; Occupancy: 3
; WaveLimiterHint : 1
; COMPUTE_PGM_RSRC2:SCRATCH_EN: 0
; COMPUTE_PGM_RSRC2:USER_SGPR: 2
; COMPUTE_PGM_RSRC2:TRAP_HANDLER: 0
; COMPUTE_PGM_RSRC2:TGID_X_EN: 1
; COMPUTE_PGM_RSRC2:TGID_Y_EN: 0
; COMPUTE_PGM_RSRC2:TGID_Z_EN: 0
; COMPUTE_PGM_RSRC2:TIDIG_COMP_CNT: 0
; COMPUTE_PGM_RSRC3_GFX90A:ACCUM_OFFSET: 41
; COMPUTE_PGM_RSRC3_GFX90A:TG_SPLIT: 0
	.text
	.p2alignl 6, 3212836864
	.fill 256, 4, 3212836864
	.type	__hip_cuid_8c36a324fbe8f63a,@object ; @__hip_cuid_8c36a324fbe8f63a
	.section	.bss,"aw",@nobits
	.globl	__hip_cuid_8c36a324fbe8f63a
__hip_cuid_8c36a324fbe8f63a:
	.byte	0                               ; 0x0
	.size	__hip_cuid_8c36a324fbe8f63a, 1

	.ident	"AMD clang version 19.0.0git (https://github.com/RadeonOpenCompute/llvm-project roc-6.4.0 25133 c7fe45cf4b819c5991fe208aaa96edf142730f1d)"
	.section	".note.GNU-stack","",@progbits
	.addrsig
	.addrsig_sym __hip_cuid_8c36a324fbe8f63a
	.amdgpu_metadata
---
amdhsa.kernels:
  - .agpr_count:     0
    .args:
      - .actual_access:  read_only
        .address_space:  global
        .offset:         0
        .size:           8
        .value_kind:     global_buffer
      - .offset:         8
        .size:           8
        .value_kind:     by_value
      - .actual_access:  read_only
        .address_space:  global
        .offset:         16
        .size:           8
        .value_kind:     global_buffer
      - .actual_access:  read_only
        .address_space:  global
        .offset:         24
        .size:           8
        .value_kind:     global_buffer
      - .actual_access:  read_only
        .address_space:  global
        .offset:         32
        .size:           8
        .value_kind:     global_buffer
      - .offset:         40
        .size:           8
        .value_kind:     by_value
      - .actual_access:  read_only
        .address_space:  global
        .offset:         48
        .size:           8
        .value_kind:     global_buffer
      - .actual_access:  read_only
        .address_space:  global
        .offset:         56
        .size:           8
        .value_kind:     global_buffer
      - .offset:         64
        .size:           4
        .value_kind:     by_value
      - .actual_access:  read_only
        .address_space:  global
        .offset:         72
        .size:           8
        .value_kind:     global_buffer
      - .actual_access:  read_only
        .address_space:  global
        .offset:         80
        .size:           8
        .value_kind:     global_buffer
      - .actual_access:  read_only
        .address_space:  global
        .offset:         88
        .size:           8
        .value_kind:     global_buffer
      - .actual_access:  write_only
        .address_space:  global
        .offset:         96
        .size:           8
        .value_kind:     global_buffer
    .group_segment_fixed_size: 0
    .kernarg_segment_align: 8
    .kernarg_segment_size: 104
    .language:       OpenCL C
    .language_version:
      - 2
      - 0
    .max_flat_workgroup_size: 110
    .name:           fft_rtc_back_len1650_factors_11_2_3_5_5_wgs_110_tpt_110_halfLds_dp_op_CI_CI_unitstride_sbrr_R2C_dirReg
    .private_segment_fixed_size: 0
    .sgpr_count:     46
    .sgpr_spill_count: 0
    .symbol:         fft_rtc_back_len1650_factors_11_2_3_5_5_wgs_110_tpt_110_halfLds_dp_op_CI_CI_unitstride_sbrr_R2C_dirReg.kd
    .uniform_work_group_size: 1
    .uses_dynamic_stack: false
    .vgpr_count:     168
    .vgpr_spill_count: 0
    .wavefront_size: 64
amdhsa.target:   amdgcn-amd-amdhsa--gfx950
amdhsa.version:
  - 1
  - 2
...

	.end_amdgpu_metadata
